;; amdgpu-corpus repo=ROCm/Tensile kind=harvested arch=n/a opt=n/a

/******************************************/
/* Function Prefix                        */
/******************************************/



/******************************************/
/* Begin Kernel                           */
/******************************************/

// Component.Signature.SignatureDefault
.amdgcn_target "amdgcn-amd-amdhsa--gfx942"
.text
.protected Cijk_Ailk_Bjlk_HHS_BH_MT256x128x64_MI16x16x16x1_SN_1LDSB1_APM1_AF0EM8_AF1EM8_AMAS3_ASE_ASGT3256_ASLT_ASM0256_ASAE01_ASCE01_ASEM64_BL1_BS1_CLR1_DTVA1_DTVB0_ETSP_EPS1_ELFLR0_EMLL0_FSSC10_FL0_GLVWA4_GLVWB4_GRCGA1_GRPM0p20_GRVWn1_GSU1_GSUASB_GLS0_IU1_K1_LBSPPA0_LBSPPB0_LPA0_LPB0_LRVW4_LWPMn1_MIAV0_MKFGSU256_NTA0_NTB0_NTC1_NTD1_NEPBS0_NLCA1_NLCB1_ONLL1_PGR1_PLR5_PKA0_SIA3_SLW1_SS1_SU0_SUM0_SUS0_SPO1_SRVW0_SSO4_SVW4_TSGRA0_TSGRB0_TT4_128_TLDS0_UMLDSA0_UMLDSB0_USFGROn1_VAW1_VSn1_VW4_VWB4_VFLRP1_WSGRA0_WSGRB0_WG64_4_1_WGM2
.globl Cijk_Ailk_Bjlk_HHS_BH_MT256x128x64_MI16x16x16x1_SN_1LDSB1_APM1_AF0EM8_AF1EM8_AMAS3_ASE_ASGT3256_ASLT_ASM0256_ASAE01_ASCE01_ASEM64_BL1_BS1_CLR1_DTVA1_DTVB0_ETSP_EPS1_ELFLR0_EMLL0_FSSC10_FL0_GLVWA4_GLVWB4_GRCGA1_GRPM0p20_GRVWn1_GSU1_GSUASB_GLS0_IU1_K1_LBSPPA0_LBSPPB0_LPA0_LPB0_LRVW4_LWPMn1_MIAV0_MKFGSU256_NTA0_NTB0_NTC1_NTD1_NEPBS0_NLCA1_NLCB1_ONLL1_PGR1_PLR5_PKA0_SIA3_SLW1_SS1_SU0_SUM0_SUS0_SPO1_SRVW0_SSO4_SVW4_TSGRA0_TSGRB0_TT4_128_TLDS0_UMLDSA0_UMLDSB0_USFGROn1_VAW1_VSn1_VW4_VWB4_VFLRP1_WSGRA0_WSGRB0_WG64_4_1_WGM2
.p2align 8
.type Cijk_Ailk_Bjlk_HHS_BH_MT256x128x64_MI16x16x16x1_SN_1LDSB1_APM1_AF0EM8_AF1EM8_AMAS3_ASE_ASGT3256_ASLT_ASM0256_ASAE01_ASCE01_ASEM64_BL1_BS1_CLR1_DTVA1_DTVB0_ETSP_EPS1_ELFLR0_EMLL0_FSSC10_FL0_GLVWA4_GLVWB4_GRCGA1_GRPM0p20_GRVWn1_GSU1_GSUASB_GLS0_IU1_K1_LBSPPA0_LBSPPB0_LPA0_LPB0_LRVW4_LWPMn1_MIAV0_MKFGSU256_NTA0_NTB0_NTC1_NTD1_NEPBS0_NLCA1_NLCB1_ONLL1_PGR1_PLR5_PKA0_SIA3_SLW1_SS1_SU0_SUM0_SUS0_SPO1_SRVW0_SSO4_SVW4_TSGRA0_TSGRB0_TT4_128_TLDS0_UMLDSA0_UMLDSB0_USFGROn1_VAW1_VSn1_VW4_VWB4_VFLRP1_WSGRA0_WSGRB0_WG64_4_1_WGM2,@function
.section .rodata,#alloc
.p2align 6
.amdhsa_kernel Cijk_Ailk_Bjlk_HHS_BH_MT256x128x64_MI16x16x16x1_SN_1LDSB1_APM1_AF0EM8_AF1EM8_AMAS3_ASE_ASGT3256_ASLT_ASM0256_ASAE01_ASCE01_ASEM64_BL1_BS1_CLR1_DTVA1_DTVB0_ETSP_EPS1_ELFLR0_EMLL0_FSSC10_FL0_GLVWA4_GLVWB4_GRCGA1_GRPM0p20_GRVWn1_GSU1_GSUASB_GLS0_IU1_K1_LBSPPA0_LBSPPB0_LPA0_LPB0_LRVW4_LWPMn1_MIAV0_MKFGSU256_NTA0_NTB0_NTC1_NTD1_NEPBS0_NLCA1_NLCB1_ONLL1_PGR1_PLR5_PKA0_SIA3_SLW1_SS1_SU0_SUM0_SUS0_SPO1_SRVW0_SSO4_SVW4_TSGRA0_TSGRB0_TT4_128_TLDS0_UMLDSA0_UMLDSB0_USFGROn1_VAW1_VSn1_VW4_VWB4_VFLRP1_WSGRA0_WSGRB0_WG64_4_1_WGM2
  .amdhsa_user_sgpr_kernarg_segment_ptr 1
  .amdhsa_user_sgpr_kernarg_preload_offset 0
  .amdhsa_user_sgpr_kernarg_preload_length 0
  .amdhsa_user_sgpr_count 2
  .amdhsa_accum_offset 256 // accvgpr offset
  .amdhsa_next_free_vgpr 384 // vgprs
  .amdhsa_next_free_sgpr 62 // sgprs
  .amdhsa_group_segment_fixed_size 16384 // lds bytes
  .amdhsa_private_segment_fixed_size 0
  .amdhsa_system_sgpr_workgroup_id_x 1
  .amdhsa_system_sgpr_workgroup_id_y 1
  .amdhsa_system_sgpr_workgroup_id_z 1
  .amdhsa_system_vgpr_workitem_id 0
  .amdhsa_float_denorm_mode_32 3
  .amdhsa_float_denorm_mode_16_64 3
.end_amdhsa_kernel
.text

/******************************************/
/* Optimizations and Config:              */
/******************************************/
/* ThreadTile= 16 x 8 */
/* SubGroup= 16 x 16 */
/* VectorWidthA=4 */
/* VectorWidthB=4 */
/* GlobalLoadVectorWidthA=4, GlobalLoadVectorWidthB=4 */
/* DirectToLdsA=False */
/* DirectToLdsB=False */
/* UseSgprForGRO=0 */
.amdgpu_metadata
---
amdhsa.version:
  - 1
  - 1
amdhsa.target: amdgcn-amd-amdhsa--gfx942
amdhsa.kernels:
  - .name: Cijk_Ailk_Bjlk_HHS_BH_MT256x128x64_MI16x16x16x1_SN_1LDSB1_APM1_AF0EM8_AF1EM8_AMAS3_ASE_ASGT3256_ASLT_ASM0256_ASAE01_ASCE01_ASEM64_BL1_BS1_CLR1_DTVA1_DTVB0_ETSP_EPS1_ELFLR0_EMLL0_FSSC10_FL0_GLVWA4_GLVWB4_GRCGA1_GRPM0p20_GRVWn1_GSU1_GSUASB_GLS0_IU1_K1_LBSPPA0_LBSPPB0_LPA0_LPB0_LRVW4_LWPMn1_MIAV0_MKFGSU256_NTA0_NTB0_NTC1_NTD1_NEPBS0_NLCA1_NLCB1_ONLL1_PGR1_PLR5_PKA0_SIA3_SLW1_SS1_SU0_SUM0_SUS0_SPO1_SRVW0_SSO4_SVW4_TSGRA0_TSGRB0_TT4_128_TLDS0_UMLDSA0_UMLDSB0_USFGROn1_VAW1_VSn1_VW4_VWB4_VFLRP1_WSGRA0_WSGRB0_WG64_4_1_WGM2
    .symbol: 'Cijk_Ailk_Bjlk_HHS_BH_MT256x128x64_MI16x16x16x1_SN_1LDSB1_APM1_AF0EM8_AF1EM8_AMAS3_ASE_ASGT3256_ASLT_ASM0256_ASAE01_ASCE01_ASEM64_BL1_BS1_CLR1_DTVA1_DTVB0_ETSP_EPS1_ELFLR0_EMLL0_FSSC10_FL0_GLVWA4_GLVWB4_GRCGA1_GRPM0p20_GRVWn1_GSU1_GSUASB_GLS0_IU1_K1_LBSPPA0_LBSPPB0_LPA0_LPB0_LRVW4_LWPMn1_MIAV0_MKFGSU256_NTA0_NTB0_NTC1_NTD1_NEPBS0_NLCA1_NLCB1_ONLL1_PGR1_PLR5_PKA0_SIA3_SLW1_SS1_SU0_SUM0_SUS0_SPO1_SRVW0_SSO4_SVW4_TSGRA0_TSGRB0_TT4_128_TLDS0_UMLDSA0_UMLDSB0_USFGROn1_VAW1_VSn1_VW4_VWB4_VFLRP1_WSGRA0_WSGRB0_WG64_4_1_WGM2.kd'
    .language:                   OpenCL C
    .language_version:
      - 2
      - 0
    .args:
      - .name:            Tensor2dSizeA
        .size:            8
        .offset:          0
        .value_kind:      by_value
        .value_type:      u64
      - .name:            Tensor2dSizeB
        .size:            8
        .offset:          8
        .value_kind:      by_value
        .value_type:      u64
      - .name:            AddressD
        .size:            8
        .offset:          16
        .value_kind:      by_value
        .value_type:      u64
      - .name:            AddressC
        .size:            8
        .offset:          24
        .value_kind:      by_value
        .value_type:      u64
      - .name:            AddressA
        .size:            8
        .offset:          32
        .value_kind:      by_value
        .value_type:      u64
      - .name:            AddressB
        .size:            8
        .offset:          40
        .value_kind:      by_value
        .value_type:      u64
      - .name:            Alpha
        .size:            4
        .offset:          48
        .value_kind:      by_value
        .value_type:      u32
      - .name:            Beta
        .size:            4
        .offset:          52
        .value_kind:      by_value
        .value_type:      u32
      - .name:            StridesD
        .size:            8
        .offset:          56
        .value_kind:      by_value
        .value_type:      u64
      - .name:            StridesC
        .size:            8
        .offset:          64
        .value_kind:      by_value
        .value_type:      u64
      - .name:            StridesA
        .size:            8
        .offset:          72
        .value_kind:      by_value
        .value_type:      u64
      - .name:            StridesB
        .size:            8
        .offset:          80
        .value_kind:      by_value
        .value_type:      u64
      - .name:            SizesFree
        .size:            12
        .offset:          88
        .value_kind:      by_value
        .value_type:      u96
      - .name:            SizesSum
        .size:            4
        .offset:          100
        .value_kind:      by_value
        .value_type:      u32
      - .name:            NumWorkGroups0
        .size:            4
        .offset:          104
        .value_kind:      by_value
        .value_type:      u32
      - .name:            NumWorkGroups1
        .size:            4
        .offset:          108
        .value_kind:      by_value
        .value_type:      u32
      - .name:            NumFullBlocks
        .size:            4
        .offset:          112
        .value_kind:      by_value
        .value_type:      u32
      - .name:            WgmRemainder1
        .size:            4
        .offset:          116
        .value_kind:      by_value
        .value_type:      u32
      - .name:            MagicNumberWgmRemainder1
        .size:            4
        .offset:          120
        .value_kind:      by_value
        .value_type:      u32
    .group_segment_fixed_size:   16384
    .kernarg_segment_align:      8
    .kernarg_segment_size:       128
    .max_flat_workgroup_size:    256
    .private_segment_fixed_size: 0
    .sgpr_count:                 62
    .sgpr_spill_count:           0
    .vgpr_count:                 256
    .vgpr_spill_count:           0
    .wavefront_size:             64
...
.end_amdgpu_metadata
Cijk_Ailk_Bjlk_HHS_BH_MT256x128x64_MI16x16x16x1_SN_1LDSB1_APM1_AF0EM8_AF1EM8_AMAS3_ASE_ASGT3256_ASLT_ASM0256_ASAE01_ASCE01_ASEM64_BL1_BS1_CLR1_DTVA1_DTVB0_ETSP_EPS1_ELFLR0_EMLL0_FSSC10_FL0_GLVWA4_GLVWB4_GRCGA1_GRPM0p20_GRVWn1_GSU1_GSUASB_GLS0_IU1_K1_LBSPPA0_LBSPPB0_LPA0_LPB0_LRVW4_LWPMn1_MIAV0_MKFGSU256_NTA0_NTB0_NTC1_NTD1_NEPBS0_NLCA1_NLCB1_ONLL1_PGR1_PLR5_PKA0_SIA3_SLW1_SS1_SU0_SUM0_SUS0_SPO1_SRVW0_SSO4_SVW4_TSGRA0_TSGRB0_TT4_128_TLDS0_UMLDSA0_UMLDSB0_USFGROn1_VAW1_VSn1_VW4_VWB4_VFLRP1_WSGRA0_WSGRB0_WG64_4_1_WGM2:

/******************************************/
/* Asm syntax workarounds                 */
/******************************************/
.macro _v_add_co_u32 dst:req, cc:req, src0:req, src1:req, dpp=
   v_add_co_u32 \dst, \cc, \src0, \src1 \dpp
.endm

.macro _v_add_u32 dst:req, src0:req, src1:req, dpp=
   v_add_u32 \dst, \src0, \src1 \dpp
.endm

.macro _v_add_i32 dst:req, src0:req, src1:req, dpp=
   v_add_i32 \dst, \src0, \src1 \dpp
.endm

.macro _v_addc_co_u32 dst:req, ccOut:req, src0:req, ccIn:req, src1:req, dpp=
   v_addc_co_u32 \dst, \ccOut, \src0, \ccIn, \src1 \dpp
.endm

.macro _v_sub_co_u32 dst:req, cc:req, src0:req, src1:req, dpp=
   v_sub_co_u32 \dst, \cc, \src0, \src1 \dpp
.endm

.macro _v_sub_u32 dst:req, src0:req, src1:req, dpp=
   v_sub_u32 \dst, \src0, \src1 \dpp
.endm

.macro _v_sub_i32 dst:req, src0:req, src1:req, dpp=
   v_sub_i32 \dst, \src0, \src1 \dpp
.endm

.macro _v_add_lshl_u32 dst:req, src0:req, src1:req, shiftCnt:req
    v_add_lshl_u32 \dst, \src0, \src1, \shiftCnt
.endm

.macro _v_lshl_add_u32 dst:req, src0:req, src1:req, shiftCnt:req
    v_lshl_add_u32 \dst, \src0, \src1, \shiftCnt
.endm

.macro _v_lshl_or_b32 dst:req, src0:req, shiftCnt:req, src1:req
    v_lshl_or_b32 \dst, \src0, \shiftCnt, \src1
.endm

.macro _v_dot2acc_f32_f16 dst, src0, src1
v_dot2c_f32_f16 \dst, \src0, \src1
.endm

.macro _v_cmpx_lt_i16 dst, src0, src1=
   v_cmpx_lt_i16 \dst, \src0, \src1 
.endm

.macro _v_cmpx_lt_i32 dst, src0, src1=
   v_cmpx_lt_i32 \dst, \src0, \src1 
.endm

.macro _v_cmpx_lt_i64 dst, src0, src1=
   v_cmpx_lt_i64 \dst, \src0, \src1 
.endm

.macro _v_cmpx_lt_u16 dst, src0, src1=
   v_cmpx_lt_u16 \dst, \src0, \src1 
.endm

.macro _v_cmpx_lt_u32 dst, src0, src1=
   v_cmpx_lt_u32 \dst, \src0, \src1 
.endm

.macro _v_cmpx_lt_u64 dst, src0, src1=
   v_cmpx_lt_u64 \dst, \src0, \src1 
.endm

.macro _v_cmpx_eq_i16 dst, src0, src1=
   v_cmpx_eq_i16 \dst, \src0, \src1 
.endm

.macro _v_cmpx_eq_i32 dst, src0, src1=
   v_cmpx_eq_i32 \dst, \src0, \src1 
.endm

.macro _v_cmpx_eq_i64 dst, src0, src1=
   v_cmpx_eq_i64 \dst, \src0, \src1 
.endm

.macro _v_cmpx_eq_u16 dst, src0, src1=
   v_cmpx_eq_u16 \dst, \src0, \src1 
.endm

.macro _v_cmpx_eq_u32 dst, src0, src1=
   v_cmpx_eq_u32 \dst, \src0, \src1 
.endm

.macro _v_cmpx_eq_u64 dst, src0, src1=
   v_cmpx_eq_u64 \dst, \src0, \src1 
.endm

.macro _v_cmpx_le_i16 dst, src0, src1=
   v_cmpx_le_i16 \dst, \src0, \src1 
.endm

.macro _v_cmpx_le_i32 dst, src0, src1=
   v_cmpx_le_i32 \dst, \src0, \src1 
.endm

.macro _v_cmpx_le_i64 dst, src0, src1=
   v_cmpx_le_i64 \dst, \src0, \src1 
.endm

.macro _v_cmpx_le_u16 dst, src0, src1=
   v_cmpx_le_u16 \dst, \src0, \src1 
.endm

.macro _v_cmpx_le_u32 dst, src0, src1=
   v_cmpx_le_u32 \dst, \src0, \src1 
.endm

.macro _v_cmpx_le_u64 dst, src0, src1=
   v_cmpx_le_u64 \dst, \src0, \src1 
.endm

.macro _v_cmpx_gt_i16 dst, src0, src1=
   v_cmpx_gt_i16 \dst, \src0, \src1 
.endm

.macro _v_cmpx_gt_i32 dst, src0, src1=
   v_cmpx_gt_i32 \dst, \src0, \src1 
.endm

.macro _v_cmpx_gt_i64 dst, src0, src1=
   v_cmpx_gt_i64 \dst, \src0, \src1 
.endm

.macro _v_cmpx_gt_u16 dst, src0, src1=
   v_cmpx_gt_u16 \dst, \src0, \src1 
.endm

.macro _v_cmpx_gt_u32 dst, src0, src1=
   v_cmpx_gt_u32 \dst, \src0, \src1 
.endm

.macro _v_cmpx_gt_u64 dst, src0, src1=
   v_cmpx_gt_u64 \dst, \src0, \src1 
.endm

.macro _v_cmpx_ne_i16 dst, src0, src1=
   v_cmpx_ne_i16 \dst, \src0, \src1 
.endm

.macro _v_cmpx_ne_i32 dst, src0, src1=
   v_cmpx_ne_i32 \dst, \src0, \src1 
.endm

.macro _v_cmpx_ne_i64 dst, src0, src1=
   v_cmpx_ne_i64 \dst, \src0, \src1 
.endm

.macro _v_cmpx_ne_u16 dst, src0, src1=
   v_cmpx_ne_u16 \dst, \src0, \src1 
.endm

.macro _v_cmpx_ne_u32 dst, src0, src1=
   v_cmpx_ne_u32 \dst, \src0, \src1 
.endm

.macro _v_cmpx_ne_u64 dst, src0, src1=
   v_cmpx_ne_u64 \dst, \src0, \src1 
.endm

.macro _v_cmpx_lg_i16 dst, src0, src1=
   v_cmpx_lg_i16 \dst, \src0, \src1 
.endm

.macro _v_cmpx_lg_i32 dst, src0, src1=
   v_cmpx_lg_i32 \dst, \src0, \src1 
.endm

.macro _v_cmpx_lg_i64 dst, src0, src1=
   v_cmpx_lg_i64 \dst, \src0, \src1 
.endm

.macro _v_cmpx_lg_u16 dst, src0, src1=
   v_cmpx_lg_u16 \dst, \src0, \src1 
.endm

.macro _v_cmpx_lg_u32 dst, src0, src1=
   v_cmpx_lg_u32 \dst, \src0, \src1 
.endm

.macro _v_cmpx_lg_u64 dst, src0, src1=
   v_cmpx_lg_u64 \dst, \src0, \src1 
.endm

.macro _v_cmpx_ge_i16 dst, src0, src1=
   v_cmpx_ge_i16 \dst, \src0, \src1 
.endm

.macro _v_cmpx_ge_i32 dst, src0, src1=
   v_cmpx_ge_i32 \dst, \src0, \src1 
.endm

.macro _v_cmpx_ge_i64 dst, src0, src1=
   v_cmpx_ge_i64 \dst, \src0, \src1 
.endm

.macro _v_cmpx_ge_u16 dst, src0, src1=
   v_cmpx_ge_u16 \dst, \src0, \src1 
.endm

.macro _v_cmpx_ge_u32 dst, src0, src1=
   v_cmpx_ge_u32 \dst, \src0, \src1 
.endm

.macro _v_cmpx_ge_u64 dst, src0, src1=
   v_cmpx_ge_u64 \dst, \src0, \src1 
.endm

.macro _v_cmpx_o_i16 dst, src0, src1=
   v_cmpx_o_i16 \dst, \src0, \src1 
.endm

.macro _v_cmpx_o_i32 dst, src0, src1=
   v_cmpx_o_i32 \dst, \src0, \src1 
.endm

.macro _v_cmpx_o_i64 dst, src0, src1=
   v_cmpx_o_i64 \dst, \src0, \src1 
.endm

.macro _v_cmpx_o_u16 dst, src0, src1=
   v_cmpx_o_u16 \dst, \src0, \src1 
.endm

.macro _v_cmpx_o_u32 dst, src0, src1=
   v_cmpx_o_u32 \dst, \src0, \src1 
.endm

.macro _v_cmpx_o_u64 dst, src0, src1=
   v_cmpx_o_u64 \dst, \src0, \src1 
.endm

.macro _v_cmpx_u_i16 dst, src0, src1=
   v_cmpx_u_i16 \dst, \src0, \src1 
.endm

.macro _v_cmpx_u_i32 dst, src0, src1=
   v_cmpx_u_i32 \dst, \src0, \src1 
.endm

.macro _v_cmpx_u_i64 dst, src0, src1=
   v_cmpx_u_i64 \dst, \src0, \src1 
.endm

.macro _v_cmpx_u_u16 dst, src0, src1=
   v_cmpx_u_u16 \dst, \src0, \src1 
.endm

.macro _v_cmpx_u_u32 dst, src0, src1=
   v_cmpx_u_u32 \dst, \src0, \src1 
.endm

.macro _v_cmpx_u_u64 dst, src0, src1=
   v_cmpx_u_u64 \dst, \src0, \src1 
.endm
.macro _v_mac_f32 c:req, a:req, b:req
    v_fmac_f32 \c, \a, \b
.endmacro

/* scale global load macros */
.macro _s_load_b32 dst base offset
    s_load_dword \dst \base \offset
.endm

.macro _s_load_b64 dst base offset
    s_load_dwordx2 \dst \base \offset
.endm

.macro _s_load_b128 dst base offset
    s_load_dwordx4 \dst \base \offset
.endm

.macro _s_load_b256 dst base offset
    s_load_dwordx8 \dst \base \offset
.endm

.macro _s_load_b512 dst base offset
    s_load_dwordx16 \dst \base \offset
.endm


/* ds operation macros */
.macro _ds_load_u8 dst src offset
    ds_read_u8 \dst \src \offset
.endm

.macro _ds_load_u8_d16_hi dst src offset
    ds_read_u8_d16_hi \dst \src \offset
.endm

.macro _ds_load_u16 dst src offset
    ds_read_u16 \dst \src \offset
.endm

.macro _ds_load_u16_d16_hi dst src offset
    ds_read_u16_d16_hi \dst \src \offset
.endm

.macro _ds_load_b32 dst src offset
    ds_read_b32 \dst \src \offset
.endm

.macro _ds_load_b64 dst src offset
    ds_read_b64 \dst \src \offset
.endm

.macro _ds_load_b128 dst src offset
    ds_read_b128 \dst \src \offset
.endm

.macro _ds_store_b8 dst src offset
    ds_write_b8 \dst \src \offset
.endm

.macro _ds_store_b8_d16_hi dst src offset
    ds_write_b8_d16_hi \dst \src \offset
.endm

.macro _ds_store_b16 dst src offset
    ds_write_b16 \dst \src \offset
.endm

.macro _ds_store_b16_d16_hi dst src offset
    ds_write_b16_d16_hi \dst \src \offset
.endm

.macro _ds_store_b32 dst src offset
    ds_write_b32 \dst \src \offset
.endm

.macro _ds_store_b64 dst src offset
    ds_write_b64 \dst \src \offset
.endm

.macro _ds_store_b128 dst src offset
    ds_write_b128 \dst \src \offset
.endm

.macro _ds_load2_b32 dst src offset1 offset2
    ds_read2_b32 \dst \src \offset1 \offset2
.endm

.macro _ds_load2_b64 dst src offset1 offset2
    ds_read2_b64 \dst \src \offset1 \offset2
.endm

.macro _ds_store2_b32 dst src offset1 offset2
    ds_write2_b32 \dst \src \offset1 \offset2
.endm

.macro _ds_store2_b64 dst src offset1 offset2
    ds_write2_b64 \dst \src \offset1 \offset2
.endm


/* buffer memory operation macros */
.macro _buffer_load_b32 dst voffset base soffset offen ioffset md0 md1 md2
    buffer_load_dword \dst \voffset \base \soffset \offen \ioffset \md0 \md1 \md2
.endm

.macro _buffer_load_b64 dst voffset base soffset offen ioffset md0 md1 md2
    buffer_load_dwordx2 \dst \voffset \base \soffset \offen \ioffset \md0 \md1 \md2
.endm

.macro _buffer_load_b96 dst voffset base soffset offen ioffset md0 md1 md2
    buffer_load_dwordx3 \dst \voffset \base \soffset \offen \ioffset \md0 \md1 \md2
.endm

.macro _buffer_load_b128 dst voffset base soffset offen ioffset md0 md1 md2
    buffer_load_dwordx4 \dst \voffset \base \soffset \offen \ioffset \md0 \md1 \md2
.endm

.macro _buffer_load_d16_b16 dst voffset base soffset offen ioffset md0 md1 md2
    buffer_load_short_d16 \dst \voffset \base \soffset \offen \ioffset \md0 \md1 \md2
.endm

.macro _buffer_load_d16_hi_b16 dst voffset base soffset offen ioffset md0 md1 md2
    buffer_load_short_d16_hi \dst \voffset \base \soffset \offen \ioffset \md0 \md1 \md2
.endm

.macro _buffer_load_d16_u8 dst voffset base soffset offen ioffset md0 md1 md2
    buffer_load_ubyte_d16 \dst \voffset \base \soffset \offen \ioffset \md0 \md1 \md2
.endm

.macro _buffer_load_d16_hi_u8 dst voffset base soffset offen ioffset md0 md1 md2
    buffer_load_ubyte_d16_hi \dst \voffset \base \soffset \offen \ioffset \md0 \md1 \md2
.endm

.macro _buffer_load_u16 dst voffset base soffset offen ioffset md0 md1 md2
    buffer_load_ushort \dst \voffset \base \soffset \offen \ioffset \md0 \md1 \md2
.endm

.macro _buffer_load_b32_dtl voffset base soffset offen ioffset md0 md1 md2
    buffer_load_dword \voffset \base \soffset \offen \ioffset \md0 \md1 \md2
.endm

.macro _buffer_load_b64_dtl voffset base soffset offen ioffset md0 md1 md2
    buffer_load_dwordx2 \voffset \base \soffset \offen \ioffset \md0 \md1 \md2
.endm

.macro _buffer_load_b128_dtl voffset base soffset offen ioffset md0 md1 md2
    buffer_load_dwordx4 \voffset \base \soffset \offen \ioffset \md0 \md1 \md2
.endm

.macro _buffer_load_u16_dtl voffset base soffset offen ioffset md0 md1 md2
    buffer_load_ushort \voffset \base \soffset \offen \ioffset \md0 \md1 \md2
.endm

.macro _buffer_store_b32 src voffset base soffset offen ioffset md0 md1 md2
    buffer_store_dword \src \voffset \base \soffset \offen \ioffset \md0 \md1 \md2
.endm

.macro _buffer_store_b64 src voffset base soffset offen ioffset md0 md1 md2
    buffer_store_dwordx2 \src \voffset \base \soffset \offen \ioffset \md0 \md1 \md2
.endm

.macro _buffer_store_b96 src voffset base soffset offen ioffset md0 md1 md2
    buffer_store_dwordx3 \src \voffset \base \soffset \offen \ioffset \md0 \md1 \md2
.endm

.macro _buffer_store_b128 src voffset base soffset offen ioffset md0 md1 md2
    buffer_store_dwordx4 \src \voffset \base \soffset \offen \ioffset \md0 \md1 \md2
.endm

.macro _buffer_store_b16 src voffset base soffset offen ioffset md0 md1 md2
    buffer_store_short \src \voffset \base \soffset \offen \ioffset \md0 \md1 \md2
.endm

.macro _buffer_store_d16_hi_b16 src voffset base soffset offen ioffset md0 md1 md2
    buffer_store_short_d16_hi \src \voffset \base \soffset \offen \ioffset \md0 \md1 \md2
.endm

.macro _buffer_store_b8 src voffset base soffset offen ioffset md0 md1 md2
    buffer_store_byte \src \voffset \base \soffset \offen \ioffset \md0 \md1 \md2
.endm

.macro _buffer_store_d16_hi_b8 src voffset base soffset offen ioffset md0 md1 md2
    buffer_store_byte_d16_hi \src \voffset \base \soffset \offen \ioffset \md0 \md1 \md2
.endm

.macro _buffer_atomic_cmpswap_b32 dst voffset base soffset offen ioffset md0 md1 md2
    buffer_atomic_cmpswap \dst \voffset \base \soffset \offen \ioffset \md0 \md1 \md2
.endm

.macro _buffer_atomic_cmpswap_b64 dst voffset base soffset offen ioffset md0 md1 md2
    buffer_atomic_cmpswap_x2 \dst \voffset \base \soffset \offen \ioffset \md0 \md1 \md2
.endm


/* buffer memory operation macros */
.macro _global_load_b32 dst base src ioffset md0 md1 md2
    global_load_dword \dst \base \src \ioffset \md0 \md1 \md2
.endm

.macro _global_load_b64 dst base src ioffset md0 md1 md2
    global_load_dwordx2 \dst \base \src \ioffset \md0 \md1 \md2
.endm

.macro _global_load_b96 dst base src ioffset md0 md1 md2
    global_load_dwordx3 \dst \base \src \ioffset \md0 \md1 \md2
.endm

.macro _global_load_b128 dst base src ioffset md0 md1 md2
    global_load_dwordx4 \dst \base \src \ioffset \md0 \md1 \md2
.endm

.macro _global_load_d16_b16 dst base src ioffset md0 md1 md2
    global_load_short_d16 \dst \base \src \ioffset \md0 \md1 \md2
.endm

.macro _global_load_d16_hi_b16 dst base src ioffset md0 md1 md2
    global_load_short_d16_hi \dst \base \src \ioffset \md0 \md1 \md2
.endm

.macro _global_load_d16_u8 dst base src ioffset md0 md1 md2
    global_load_ubyte_d16 \dst \base \src \ioffset \md0 \md1 \md2
.endm

.macro _global_load_d16_hi_u8 dst base src ioffset md0 md1 md2
    global_load_ubyte_d16_hi \dst \base \src \ioffset \md0 \md1 \md2
.endm

.macro _global_load_u16 dst base src ioffset md0 md1 md2
    global_load_ushort \dst \base \src \ioffset \md0 \md1 \md2
.endm

.macro _global_store_b32 base src src2 md0 md1 md2
    global_store_dword \base \src \src2 \md0 \md1 \md2
.endm

.macro _global_store_b64 base src src2 md0 md1 md2
    global_store_dwordx2 \base \src \src2 \md0 \md1 \md2
.endm

.macro _global_store_b96 base src src2 md0 md1 md2
    global_store_dwordx3 \base \src \src2 \md0 \md1 \md2
.endm

.macro _global_store_b128 base src src2 md0 md1 md2
    global_store_dwordx4 \base \src \src2 \md0 \md1 \md2
.endm

.macro _global_store_d16_b16 base src src2 md0 md1 md2
    global_store_short \base \src \src2 \md0 \md1 \md2
.endm

.macro _global_store_d16_hi_b16 base src src2 md0 md1 md2
    global_store_short_d16_hi \base \src \src2 \md0 \md1 \md2
.endm

.macro _global_store_d16_u8 base src src2 md0 md1 md2
    global_store_ubyte_d16 \base \src \src2 \md0 \md1 \md2
.endm

.macro _global_store_d16_hi_u8 base src src2 md0 md1 md2
    global_store_ubyte_d16_hi \base \src \src2 \md0 \md1 \md2
.endm

.macro _global_store_u16 base src src2 md0 md1 md2
    global_store_ushort \base \src \src2 \md0 \md1 \md2
.endm

.macro _global_atomic_cmpswap_b32 tmp base data src ioffset md
    global_atomic_cmpswap \tmp \base \data \src \ioffset \md
.endm

.macro _global_atomic_cmpswap_b64 tmp base data src ioffset md
    global_atomic_cmpswap_x2 \tmp \base \data \src \ioffset \md
.endm


/******************************************/
/* Magic div and mod functions            */
/******************************************/
.macro V_MAGIC_DIV dstIdx:req, dividend:req, magicNumber:req, magicShift:req, magicA:req
    v_mul_hi_u32 v[\dstIdx+1], \dividend, \magicNumber
    v_mul_lo_u32 v[\dstIdx+0], \dividend, \magicA
    _v_add_u32 v[\dstIdx+0], v[\dstIdx+0], v[\dstIdx+1]
    v_lshrrev_b32 v[\dstIdx+0], \magicShift, v[\dstIdx+0]
.endm

/******************************************/
/* VGPR Assignments                       */
/******************************************/
/* ValuC range: [0-0), serializedStore enabled */
.set vgprValuC, 0
/* ValuA/B   Xn=PLR buffer idx,  In=InnerUnroll idx */
.set vgprValuA_X0_I0, 0
.set vgprValuA_X1_I0, 0
.set vgprValuA_X2_I0, 0
.set vgprValuA_X3_I0, 0
.set vgprValuA_X4_I0, 0
.set vgprValuA_X5_I0, 0
.set vgprValuA_X6_I0, 0
.set vgprValuA_X7_I0, 0
.set vgprValuA_X0_I0_D0, 8
.set vgprValuA_X0_I0_D1, 10
.set vgprValuA_X0_I0_D2, 12
.set vgprValuA_X0_I0_D3, 14
.set vgprValuA_X1_I0_D0, 16
.set vgprValuA_X1_I0_D1, 18
.set vgprValuA_X1_I0_D2, 20
.set vgprValuA_X1_I0_D3, 22
.set vgprValuA_X2_I0_D0, 24
.set vgprValuA_X2_I0_D1, 26
.set vgprValuA_X2_I0_D2, 28
.set vgprValuA_X2_I0_D3, 30
.set vgprValuA_X3_I0_D0, 32
.set vgprValuA_X3_I0_D1, 34
.set vgprValuA_X3_I0_D2, 36
.set vgprValuA_X3_I0_D3, 38
.set vgprValuA_X4_I0_D0, 40
.set vgprValuA_X4_I0_D1, 42
.set vgprValuA_X4_I0_D2, 44
.set vgprValuA_X4_I0_D3, 46
.set vgprValuA_X5_I0_D0, 48
.set vgprValuA_X5_I0_D1, 50
.set vgprValuA_X5_I0_D2, 52
.set vgprValuA_X5_I0_D3, 54
.set vgprValuA_X6_I0_D0, 56
.set vgprValuA_X6_I0_D1, 58
.set vgprValuA_X6_I0_D2, 60
.set vgprValuA_X6_I0_D3, 62
.set vgprValuA_X7_I0_D0, 64
.set vgprValuA_X7_I0_D1, 66
.set vgprValuA_X7_I0_D2, 68
.set vgprValuA_X7_I0_D3, 70
.set vgprG2LA, 8
.set vgprG2LA0, 8
.set vgprG2LA1, 40
.set vgprValuB_X0_I0, 72
.set vgprValuB_X1_I0, 72
.set vgprValuB_X2_I0, 72
.set vgprValuB_X3_I0, 72
.set vgprValuB_X0_I0_D0, 88
.set vgprValuB_X0_I0_D1, 92
.set vgprValuB_X0_I0_D2, 96
.set vgprValuB_X0_I0_D3, 100
.set vgprValuB_X1_I0_D0, 104
.set vgprValuB_X1_I0_D1, 108
.set vgprValuB_X1_I0_D2, 112
.set vgprValuB_X1_I0_D3, 116
.set vgprValuB_X2_I0_D0, 120
.set vgprValuB_X2_I0_D1, 124
.set vgprValuB_X2_I0_D2, 128
.set vgprValuB_X2_I0_D3, 132
.set vgprValuB_X3_I0_D0, 136
.set vgprValuB_X3_I0_D1, 140
.set vgprValuB_X3_I0_D2, 144
.set vgprValuB_X3_I0_D3, 148
.set vgprG2LB, 178
.set vgprLocalWriteAddrB, 152
.set vgprGlobalReadOffsetA, 153
.set vgprGlobalReadOffsetB, 169
.set vgprLocalReadAddrB, 194
.set vgprSerial, 195
/* Num VGPR=256 */
/* Num AccVGPR=128 */

/******************************************/
/* SGPR Assignments                       */
/******************************************/
.set sgprKernArgAddress, 0 // (2)
.set sgprWorkGroup0, 2 // (1)
.set sgprWorkGroup1, 3 // (1)
.set sgprWorkGroup2, 4 // (1)
.set sgprLoopCounterL, 5 // (1)
.set sgprOrigLoopCounter, 6 // (1)
.set sgprSrdA, 8 // (4)
.set sgprSrdB, 12 // (4)
.set sgprSrdD, 16 // (4)
.set sgprSrdC, 20 // (4)
.set sgprTensor2dSizeA, 24 // (2)
.set sgprTensor2dSizeB, 26 // (2)
.set sgprAddressD, 28 // (2)
.set sgprAddressC, 30 // (2)
.set sgprAddressA, 32 // (2)
.set sgprAddressB, 34 // (2)
.set sgprAlpha, 36 // (1)
.set sgprBeta, 37 // (1)
.set sgprStridesD, 38 // (2)
.set sgprStridesC, 40 // (2)
.set sgprStridesA, 42 // (2)
.set sgprStridesB, 44 // (2)
.set sgprSizesFree, 46 // (3)
.set sgprSizesSum, 49 // (1)
.set sgprNumWorkGroups0, 50 // (1)
.set sgprNumWorkGroups1, 51 // (1)
.set sgprNumFullBlocks, 52 // (1)
.set sgprWgmRemainder1, 53 // (1)
.set sgprMagicNumberWgmRemainder1, 54 // (1)
.set sgprShadowLimitA, 0 // (2)
.set sgprShadowLimitB, 28 // (2)
.set sgprGlobalReadIncsA, 7 // (1)
.set sgprGlobalReadIncsB, 30 // (1)
.set sgprPackKForV0, 31 // (1)
.set sgprPackKForV1, 32 // (1)
/* max SGPR=62 */

/* Size Assignments */
.set sgprSizeI, sgprSizesFree+0
.set sgprSizeJ, sgprSizesFree+1
.set sgprSizeK, sgprSizesFree+2
.set sgprSizeL, sgprSizesSum+0

/* Stride Assignments */
.set constStrideD0I, 1
.set sgprStrideD1J, sgprStridesD+0
.set sgprStrideDK, sgprStridesD+1
.set constStrideC0I, 1
.set sgprStrideC1J, sgprStridesC+0
.set sgprStrideCK, sgprStridesC+1
.set constStrideA0I, 1
.set sgprStrideAL, sgprStridesA+0
.set sgprStrideAK, sgprStridesA+1
.set constStrideB1J, 1
.set sgprStrideBL, sgprStridesB+0
.set sgprStrideBK, sgprStridesB+1

.set MT0, 256
.set MT1, 128
.set DepthU, 64
.set GSU, 1
.set BpeA, 2
.set BpeALog2, 1
.set BpeB, 2
.set BpeBLog2, 1
/* Number of elements to shift-left SRD */
.set SrdShiftLeftA, 4
.set SrdShiftLeftB, 4
/* 2GB limit - set offsets to -1 to exceed this and clamp */
.set BufferLimitA, 0xffffffff
.set BufferLimitB, 0xffffffff
.set BufferOOB, 0xfffff000

/******************************************/
/* Bits 127:96 of SRD.                    */
/* hex: 0x00020000                        */
/* dst_sel_x (3b): 0                      */
/* dst_sel_y (3b): 0                      */
/* dst_sel_z (3b): 0                      */
/* dst_sel_w (3b): 0                      */
/* num_format (3b): 0                     */
/* data_format (4b): 4                    */
/* user_vm_enable (1b): 0                 */
/* user_vm_mode (1b): 0                   */
/* index_stride (2b): 0                   */
/* add_tid_enable (1b): 0                 */
/* _unusedA (3b): 0                       */
/* nv (1b): 0                             */
/* _unusedB (2b): 0                       */
/* type (2b): 0                           */
/******************************************/
.set Srd127_96, 0x00020000

/* Global Offset A */
.macro GLOBAL_OFFSET_A vgprAddr:req vgprOffset0I:req vgprOffsetL:req vgprTmp:req
v_mul_lo_u32 v[\vgprTmp+0], s[sgprStrideAL], v[\vgprOffsetL] // mul d1 lower
_v_add_co_u32 v[\vgprAddr+0], vcc, v[\vgprOffset0I], v[\vgprTmp+0] // accumulate K lower
_v_add_u32 v[\vgprAddr+0], 0x4, v[\vgprAddr+0]     // add prepad for pointer shift
v_lshlrev_b32 v[\vgprAddr+0], 0x1, v[\vgprAddr+0]  // offset *= bytes/element
.endm

/* Global Offset B */
.macro GLOBAL_OFFSET_B vgprAddr:req vgprOffset1J:req vgprOffsetL:req vgprTmp:req
v_mul_lo_u32 v[\vgprTmp+0], s[sgprStrideBL], v[\vgprOffsetL] // mul d1 lower
_v_add_co_u32 v[\vgprAddr+0], vcc, v[\vgprOffset1J], v[\vgprTmp+0] // accumulate K lower
_v_add_u32 v[\vgprAddr+0], 0x4, v[\vgprAddr+0]     // add prepad for pointer shift
v_lshlrev_b32 v[\vgprAddr+0], 0x1, v[\vgprAddr+0]  // offset *= bytes/element
.endm

/******************************************/
/* Dynamic Scalar Divide: vQuotient=vDividend/vDivisor; vRemainder=vDividend%vDivisor; */
/******************************************/
.macro DYNAMIC_VECTOR_DIVIDE vQuotient vRemainder vDividend vDivisor vTmp0 vTmp1 sTmp
v_cvt_f32_u32 v[\vQuotient], v[\vDivisor]          // 
v_rcp_f32 v[\vQuotient], v[\vQuotient]             // 
v_mul_f32 v[\vQuotient], 0x4f800000, v[\vQuotient] // 
v_cvt_u32_f32 v[\vQuotient], v[\vQuotient]         // 
v_mul_lo_u32 v[\vRemainder], v[\vDivisor], v[\vQuotient] // 
v_mul_hi_u32 v[\vTmp0], v[\vDivisor], v[\vQuotient] // 
_v_sub_co_u32 v[\vTmp1], vcc, 0x0, v[\vRemainder]  // 
v_cmp_ne_i32 s[\sTmp:\sTmp+1], 0x0, v[\vTmp0]      // 
v_cndmask_b32 v[\vRemainder], v[\vTmp1], v[\vRemainder], s[\sTmp:\sTmp+1] // 
v_mul_hi_u32 v[\vRemainder], v[\vRemainder], v[\vQuotient] // 
_v_sub_co_u32 v[\vTmp0], vcc, v[\vQuotient], v[\vRemainder] // 
_v_add_co_u32 v[\vQuotient], vcc, v[\vQuotient], v[\vRemainder] // 
v_cndmask_b32 v[\vQuotient], v[\vQuotient], v[\vTmp0], s[\sTmp:\sTmp+1] // 
v_mul_hi_u32 v[\vQuotient], v[\vQuotient], v[\vDividend] // 
v_mul_lo_u32 v[\vRemainder], v[\vQuotient], v[\vDivisor] // 
_v_sub_co_u32 v[\vTmp0], vcc, v[\vDividend], v[\vRemainder] // 
v_cmp_ge_u32 s[\sTmp:\sTmp+1], v[\vDividend], v[\vRemainder] // 
_v_add_co_u32 v[\vRemainder], vcc, 0x1, v[\vQuotient] // 
_v_add_co_u32 v[\vTmp1], vcc, -1, v[\vQuotient]    // 
v_cmp_le_u32 vcc, v[\vDivisor], v[\vTmp0]          // 
s_and_b64 vcc, s[\sTmp:\sTmp+1], vcc               // 
v_cndmask_b32 v[\vQuotient], v[\vQuotient], v[\vRemainder], vcc // 
v_cndmask_b32 v[\vQuotient], v[\vTmp1], v[\vQuotient], s[\sTmp:\sTmp+1] // 
v_cmp_ne_i32 vcc, 0x0, v[\vDivisor]                // 
v_cndmask_b32 v[\vQuotient], -1, v[\vQuotient], vcc // final result
v_mul_lo_u32 v[\vRemainder], v[\vQuotient], v[\vDivisor] // 
_v_sub_co_u32 v[\vRemainder], vcc, v[\vDividend], v[\vRemainder] // final result
.endm


	;; [unrolled: 1-line block ×3, first 2 shown]
/******************************************/
/* Allocate Resources                     */
/******************************************/

Cijk_Ailk_Bjlk_HHS_BH_MT256x128x64_MI16x16x16x1_SN_1LDSB1_APM1_AF0EM8_AF1EM8_AMAS3_ASE_ASGT3256_ASLT_ASM0256_ASAE01_ASCE01_ASEM64_BL1_BS1_CLR1_DTVA1_DTVB0_ETSP_EPS1_ELFLR0_EMLL0_FSSC10_FL0_GLVWA4_GLVWB4_GRCGA1_GRPM0p20_GRVWn1_GSU1_GSUASB_GLS0_IU1_K1_LBSPPA0_LBSPPB0_LPA0_LPB0_LRVW4_LWPMn1_MIAV0_MKFGSU256_NTA0_NTB0_NTC1_NTD1_NEPBS0_NLCA1_NLCB1_ONLL1_PGR1_PLR5_PKA0_SIA3_SLW1_SS1_SU0_SUM0_SUS0_SPO1_SRVW0_SSO4_SVW4_TSGRA0_TSGRB0_TT4_128_TLDS0_UMLDSA0_UMLDSB0_USFGROn1_VAW1_VSn1_VW4_VWB4_VFLRP1_WSGRA0_WSGRB0_WG64_4_1_WGM2_preloaded: // Kernel start when preloading
s_setprio 3                                        // optimization store

/* Load Kernel Args */
_s_load_b512 s[24:39], s[sgprKernArgAddress:sgprKernArgAddress+1], 0x0 // 
_s_load_b256 s[40:47], s[sgprKernArgAddress:sgprKernArgAddress+1], 0x40 // 
_s_load_b128 s[48:51], s[sgprKernArgAddress:sgprKernArgAddress+1], 0x60 // 
_s_load_b64 s[52:53], s[sgprKernArgAddress:sgprKernArgAddress+1], 0x70 // 
_s_load_b32 s54, s[sgprKernArgAddress:sgprKernArgAddress+1], 0x78 // 
s_mov_b32 m0, 0x4000                               // LDS clamp at 16384 bytes
v_mov_b32 v[vgprSerial], v0                        // thread serial id

/******************************************/
/* Local Read Addresses                   */
/******************************************/


/* local read addresses: tile assignments a/b */

/*lr1J*/
v_and_b32 v1, 63, v[vgprSerial]                    // 0. thread id in wave: wtid = tid % wavelength(64)
v_and_b32 v0, 15, v1                               // 1. N offset: nIdx = wtid % MI_N(16)
                                                   // 1. N offset: nOffset = nIdx * nStride(1) (multiplier is 1, do nothing)
                                                   // 2. block offset: bnIdx = bnIdx % num1DBlocks(1) is 0. do nothing
v_lshlrev_b32 v0, 0x2, v0                          // 4. apply VectorWidth: bnOffset = bnOffset * vw(4)
v_lshrrev_b32 v1, 4, v1                            // 5. K offset: kIdx = wtid / (MIN(16) * MIBB(1))
v_lshlrev_b32 v1, 0x9, v1                          // 5. K offset: lrKOffset = kIdx * mStride(512)
_v_add_u32 v0, v1, v0                              // 6. offset in wave: lrOffset = bnOffset + lrKOffset


/* local read addresses: final offsets a */


	;; [unrolled: 1-line block ×3, first 2 shown]
/* local read addresses: final offsets b */

v_lshlrev_b32 v[vgprLocalReadAddrB], 0x1, v0       // Final Offset: offset = (lro1)*bpe


/* local read addresses: declare addresses a */

/* N/A */


/* local read addresses: declare addresses b */


	;; [unrolled: 1-line block ×3, first 2 shown]
/* global read addresses: tile offset assignment a */

/* LVCA = 64 */
/* v0 = (local)groA-tile = serial%LVCA (note (wgA*MTA) will be added to SRD) */
/* v1 = groA-unroll = serial/LVCA */
v_and_b32 v1, 63, v[vgprSerial]                    // 0. thread id in wave: wtid = tid % wavelength(64)
v_and_b32 v0, 15, v1                               // 1. N offset: nIdx = wtid % MI_N(16)
                                                   // 1. N offset: nOffset = nIdx * nStride(1) (multiplier is 1, do nothing)
                                                   // 2. block offset: bnIdx = bnIdx % num1DBlocks(1) is 0. do nothing
                                                   // 4. apply VectorWidth: bnOffset = bnOffset * vw(1) (multiplier is 1, do nothing)
v_lshrrev_b32 v1, 4, v1                            // 5. K offset: kIdx = wtid / (MIN(16) * MIBB(1))
v_lshrrev_b32 v3, 6, v[vgprSerial]                 // v3 = v[vgprSerial] / 64
v_and_b32 v2, 3, v3                                // v2 = v3 % 4
v_lshlrev_b32 v2, 0x4, v2                          // v2 = v2 * 16
_v_add_u32 v0, v2, v0                              // 
v_lshlrev_b32 v1, 0x2, v1                          // v1 = v1 * 4
/* gro-tile *= glvw */
v_lshlrev_b32 v0, 0x2, v0                          // v0 = v0 * 4


/* global read addresses: tile offset assignment b */

/* LVCB = 32 */
/* v2 = (local)groB-tile = serial%LVCB (note (wgB*MTB) will be added to SRD) */
/* v3 = groB-unroll = serial/LVCB */
v_lshrrev_b32 v3, 5, v[vgprSerial]                 // v3 = v[vgprSerial] / 32
v_and_b32 v2, 31, v[vgprSerial]                    // v2 = v[vgprSerial] % 32
/* gro-tile *= glvw */
v_lshlrev_b32 v2, 0x2, v2                          // v2 = v2 * 4


/******************************************/
/* Local Write Addresses                  */
/******************************************/

/* lwaTileAssignmentA = v0 */

/* lwaTileAssignmentB = v2 */

/* lwaUnrollAssignmentA = v1 */

/* lwaUnrollAssignmentB = v3 */


/* local write addresses: first offset a */


	;; [unrolled: 1-line block ×3, first 2 shown]
/* local write addresses: first offset b */

v_mul_u32_u24 v[vgprLocalWriteAddrB], 0x80, v3     // lwBL**(MTB + PAD)
_v_add_lshl_u32 v[vgprLocalWriteAddrB], v2, v[vgprLocalWriteAddrB], 0x1 // lwFOB = (lwBB + lwBL*(MT1J+PAD))*bpe


	;; [unrolled: 1-line block ×7, first 2 shown]
s_waitcnt lgkmcnt(0)                               // wait for 124 bytes of kern args
s_mov_b64 s[sgprSrdC+0:sgprSrdC+0+1], s[sgprAddressC+0:sgprAddressC+0+1] // copy addressC
s_mov_b64 s[sgprSrdD+0:sgprSrdD+0+1], s[sgprAddressD+0:sgprAddressD+0+1] // copy addressD
s_sub_u32 s[sgprSrdA+0], s[sgprAddressA+0], 8      // pre-pad to make room for possible pointer shift
s_subb_u32 s[sgprSrdA+1], s[sgprAddressA+1], 0     // pre-pad to make room for possible pointer shift
s_sub_u32 s[sgprSrdB+0], s[sgprAddressB+0], 8      // pre-pad to make room for possible pointer shift
s_subb_u32 s[sgprSrdB+1], s[sgprAddressB+1], 0     // pre-pad to make room for possible pointer shift

.set AddressD, UNDEF
.set AddressC, UNDEF
.set AddressA, UNDEF
.set AddressB, UNDEF

/* Short circuit condition if Alpha == 0, then sumDims=0 */
v_cmp_eq_f32 vcc, s[sgprAlpha], 0.0                // Alpha == 0.0f ?
s_cbranch_vccz label_AlphaNonZero                  // branch if alpha != 0
s_mov_b32 s[sgprSizesSum+0], 0x0                   // Set summation dim=0 if Alpha == 0
label_AlphaNonZero:
s_mov_b32 s[sgprPackKForV0], 0x05040100            // half pack value 0 for v_perm_b32
s_mov_b32 s[sgprPackKForV1], 0x07060302            // half pack value 1 for v_perm_b32


	;; [unrolled: 1-line block ×3, first 2 shown]
/******************************************/
/* Begin setupNewTile, isPap=False           */
/******************************************/


/* global read addresses: work-group */

/* graWorkGroup mapping */
s_mov_b32 s61, 0x40000001L                         // magic number for WGM==2
s_mul_hi_u32 s59, s[sgprWorkGroup1], s61           // s_magic mul
s_mul_i32 s58, s[sgprWorkGroup1], s61              // s_magic mul
s_lshr_b64 s[58:59], s[58:59], 31                  // sMagicDiv
s_mul_i32 s59, s58, 2                              // quotient * non-magic divisor
s_sub_u32 s59, s[sgprWorkGroup1], s59              // WorkGroup1=remainder
s_mul_i32 s59, s59, s[sgprNumWorkGroups0]          // (wg1 % WGM)*nwg0
s_add_u32 s59, s59, s[sgprWorkGroup0]              // wgSerial = wg0 + (wg1 % WGM)*nwg1
s_cmp_ge_u32 s58, s[sgprNumFullBlocks]             // blockId >= numFullBlocks ?
s_cmov_b32 s61, s[sgprMagicNumberWgmRemainder1]    // 
s_cselect_b32 s60, s[sgprWgmRemainder1], 2         // 
s_mul_hi_u32 s3, s59, s61                          // s_magic mul
s_mul_i32 s2, s59, s61                             // s_magic mul
s_lshr_b64 s[2:3], s[2:3], 31                      // sMagicDiv
s_mul_i32 s[sgprWorkGroup1], s[sgprWorkGroup0], s60 // quotient * non-magic divisor
s_sub_u32 s[sgprWorkGroup1], s59, s[sgprWorkGroup1] // WorkGroup1=remainder
s_mul_i32 s58, s58, 2                              // blockId * WGM
s_add_u32 s[sgprWorkGroup1], s[sgprWorkGroup1], s58 // wg1 += blockId * WGM


/* global read addresses: unroll assignment a */

/* v1 */


/* global read addresses: unroll assignment b */

/* v3 */


/* global read addresses: other free assignments */

/* s[sgprWorkGroup2] */


/* global read addresses: tile offsets a */

v_mov_b32 v4, v0                                   // groA0I_0


/* global read addresses: tile offsets b */

v_mov_b32 v5, v2                                   // groB1J_0


/* global read addresses: unroll offsets a */

v_mov_b32 v6, v1                                   // groAL_0
_v_add_co_u32 v7, vcc, 1, v6                       // groAL_1 + LSPA
_v_add_co_u32 v8, vcc, 1, v7                       // groAL_2 + LSPA
_v_add_co_u32 v9, vcc, 1, v8                       // groAL_3 + LSPA
_v_add_co_u32 v10, vcc, 13, v9                     // groAL_4 + LSPA
_v_add_co_u32 v11, vcc, 1, v10                     // groAL_5 + LSPA
_v_add_co_u32 v12, vcc, 1, v11                     // groAL_6 + LSPA
_v_add_co_u32 v13, vcc, 1, v12                     // groAL_7 + LSPA
_v_add_co_u32 v14, vcc, 13, v13                    // groAL_8 + LSPA
_v_add_co_u32 v15, vcc, 1, v14                     // groAL_9 + LSPA
_v_add_co_u32 v16, vcc, 1, v15                     // groAL_10 + LSPA
_v_add_co_u32 v17, vcc, 1, v16                     // groAL_11 + LSPA
_v_add_co_u32 v18, vcc, 13, v17                    // groAL_12 + LSPA
_v_add_co_u32 v19, vcc, 1, v18                     // groAL_13 + LSPA
_v_add_co_u32 v20, vcc, 1, v19                     // groAL_14 + LSPA
_v_add_co_u32 v21, vcc, 1, v20                     // groAL_15 + LSPA


/* global read addresses: unroll offsets b */

v_mov_b32 v22, v3                                  // groBL_0
_v_add_co_u32 v23, vcc, 8, v22                     // groBL_1 + LSPB
_v_add_co_u32 v24, vcc, 8, v23                     // groBL_2 + LSPB
_v_add_co_u32 v25, vcc, 8, v24                     // groBL_3 + LSPB
_v_add_co_u32 v26, vcc, 8, v25                     // groBL_4 + LSPB
_v_add_co_u32 v27, vcc, 8, v26                     // groBL_5 + LSPB
_v_add_co_u32 v28, vcc, 8, v27                     // groBL_6 + LSPB
_v_add_co_u32 v29, vcc, 8, v28                     // groBL_7 + LSPB


/* global read addresses: final offsets a */

GLOBAL_OFFSET_A vgprGlobalReadOffsetA+0,  4,  6, 30 // gROA_0_0_0_0
GLOBAL_OFFSET_A vgprGlobalReadOffsetA+1,  4,  7, 30 // gROA_0_0_1_0
GLOBAL_OFFSET_A vgprGlobalReadOffsetA+2,  4,  8, 30 // gROA_0_0_2_0
GLOBAL_OFFSET_A vgprGlobalReadOffsetA+3,  4,  9, 30 // gROA_0_0_3_0
GLOBAL_OFFSET_A vgprGlobalReadOffsetA+4,  4, 10, 30 // gROA_0_0_4_0
GLOBAL_OFFSET_A vgprGlobalReadOffsetA+5,  4, 11, 30 // gROA_0_0_5_0
GLOBAL_OFFSET_A vgprGlobalReadOffsetA+6,  4, 12, 30 // gROA_0_0_6_0
GLOBAL_OFFSET_A vgprGlobalReadOffsetA+7,  4, 13, 30 // gROA_0_0_7_0
GLOBAL_OFFSET_A vgprGlobalReadOffsetA+8,  4, 14, 30 // gROA_0_0_8_0
GLOBAL_OFFSET_A vgprGlobalReadOffsetA+9,  4, 15, 30 // gROA_0_0_9_0
GLOBAL_OFFSET_A vgprGlobalReadOffsetA+10,  4, 16, 30 // gROA_0_0_10_0
GLOBAL_OFFSET_A vgprGlobalReadOffsetA+11,  4, 17, 30 // gROA_0_0_11_0
GLOBAL_OFFSET_A vgprGlobalReadOffsetA+12,  4, 18, 30 // gROA_0_0_12_0
GLOBAL_OFFSET_A vgprGlobalReadOffsetA+13,  4, 19, 30 // gROA_0_0_13_0
GLOBAL_OFFSET_A vgprGlobalReadOffsetA+14,  4, 20, 30 // gROA_0_0_14_0
GLOBAL_OFFSET_A vgprGlobalReadOffsetA+15,  4, 21, 30 // gROA_0_0_15_0


/* global read addresses: final offsets b */

GLOBAL_OFFSET_B vgprGlobalReadOffsetB+0,  5, 22, 6 // gROB_0_0_0_0
GLOBAL_OFFSET_B vgprGlobalReadOffsetB+1,  5, 23, 6 // gROB_0_0_1_0
GLOBAL_OFFSET_B vgprGlobalReadOffsetB+2,  5, 24, 6 // gROB_0_0_2_0
GLOBAL_OFFSET_B vgprGlobalReadOffsetB+3,  5, 25, 6 // gROB_0_0_3_0
GLOBAL_OFFSET_B vgprGlobalReadOffsetB+4,  5, 26, 6 // gROB_0_0_4_0
GLOBAL_OFFSET_B vgprGlobalReadOffsetB+5,  5, 27, 6 // gROB_0_0_5_0
GLOBAL_OFFSET_B vgprGlobalReadOffsetB+6,  5, 28, 6 // gROB_0_0_6_0
GLOBAL_OFFSET_B vgprGlobalReadOffsetB+7,  5, 29, 6 // gROB_0_0_7_0


/* global read addresses: addresses a */

/* max read offset = size[n] * stride[n-1] */
s_mul_hi_u32 s59, s[sgprWorkGroup0], 256           // WorkGroup[01] * MT
s_mul_i32 s58, s[sgprWorkGroup0], 256              // WorkGroup[01] * MT
s_sub_u32 s[sgprShadowLimitA+0], s[sgprTensor2dSizeA], s58 // sub tileStart
s_subb_u32 s[sgprShadowLimitA+1], s[sgprTensor2dSizeA+1], s59 // sub tileStart
s_lshl_b64 s[sgprShadowLimitA:sgprShadowLimitA+1], s[sgprShadowLimitA:sgprShadowLimitA+1], 0x1 // Set limit to use bytes
s_add_u32 s[sgprShadowLimitA+0], s[sgprShadowLimitA+0], 8 // extend limit for pre-pad
s_addc_u32 s[sgprShadowLimitA+1], s[sgprShadowLimitA+1], 0 // extend limit for pre-pad
s_cmp_eq_u32 s[sgprShadowLimitA+1], 0              // are we within 2^32?
s_cselect_b32 s[sgprSrdA+2], s[sgprShadowLimitA+0], BufferLimitA // Move shadow to real if we are within 2^32
s_mul_hi_u32 s35, s[sgprStrideAK], s[sgprWorkGroup2] // Stride*WG
s_mul_i32 s34, s[sgprStrideAK], s[sgprWorkGroup2]  // Stride*WG
s_add_u32 s58, s58, s34                            // accum wg term to tilestart
s_addc_u32 s59, s59, s35                           // accum wg term to tilestart
s_lshl_b64 s[58:59], s[58:59], 0x1                 // tileStart *= BPE
s_add_u32 s[sgprSrdA+0], s[sgprSrdA+0], s58        // SRD base = Address+ tileStart0
s_addc_u32 s[sgprSrdA+1], s[sgprSrdA+1], s59       // SRD base = Address+ tileStart1
s_mov_b32 s[sgprSrdA+3], Srd127_96                 // Set bits 127_96 in SRD


/* global read addresses: addresses b */

/* max read offset = size[n] * stride[n-1] */
s_mul_hi_u32 s59, s[sgprWorkGroup1], 128           // WorkGroup[01] * MT
s_mul_i32 s58, s[sgprWorkGroup1], 128              // WorkGroup[01] * MT
s_sub_u32 s[sgprShadowLimitB+0], s[sgprTensor2dSizeB], s58 // sub tileStart
s_subb_u32 s[sgprShadowLimitB+1], s[sgprTensor2dSizeB+1], s59 // sub tileStart
s_lshl_b64 s[sgprShadowLimitB:sgprShadowLimitB+1], s[sgprShadowLimitB:sgprShadowLimitB+1], 0x1 // Set limit to use bytes
s_add_u32 s[sgprShadowLimitB+0], s[sgprShadowLimitB+0], 8 // extend limit for pre-pad
s_addc_u32 s[sgprShadowLimitB+1], s[sgprShadowLimitB+1], 0 // extend limit for pre-pad
s_cmp_eq_u32 s[sgprShadowLimitB+1], 0              // are we within 2^32?
s_cselect_b32 s[sgprSrdB+2], s[sgprShadowLimitB+0], BufferLimitB // Move shadow to real if we are within 2^32
s_mul_hi_u32 s35, s[sgprStrideBK], s[sgprWorkGroup2] // Stride*WG
s_mul_i32 s34, s[sgprStrideBK], s[sgprWorkGroup2]  // Stride*WG
s_add_u32 s58, s58, s34                            // accum wg term to tilestart
s_addc_u32 s59, s59, s35                           // accum wg term to tilestart
s_lshl_b64 s[58:59], s[58:59], 0x1                 // tileStart *= BPE
s_add_u32 s[sgprSrdB+0], s[sgprSrdB+0], s58        // SRD base = Address+ tileStart0
s_addc_u32 s[sgprSrdB+1], s[sgprSrdB+1], s59       // SRD base = Address+ tileStart1
s_mov_b32 s[sgprSrdB+3], Srd127_96                 // Set bits 127_96 in SRD


/* global read addresses: increments a */

s_mul_i32 s[sgprGlobalReadIncsA+0], DepthU*BpeA, s[sgprStrideAL] // incrA unrollIdx)


/* global read addresses: increments b */

s_mul_i32 s[sgprGlobalReadIncsB+0], DepthU*BpeB, s[sgprStrideBL] // incrB unrollIdx)

/* declare loop num iterations */


s_lshr_b32 s[sgprLoopCounterL], s[sgprSizesSum+0], 6 // s[sgprLoopCounterL] = s[sgprSizesSum+0] / 64
s_mov_b32 s[sgprOrigLoopCounter], s[sgprLoopCounterL] // copy loop counter

/* local read addresses: init pointers a */


/* local read addresses: init pointers b */


/* localReadInitPointers */


/* prefetch: global -> local */

s_cmp_eq_u32 s[sgprLoopCounterL], 0                // at last iteration?
s_setprio 0                                        // optimization store
s_cbranch_scc1 ShadowInitStart_10                  // skip to ShadowInitStart iter b/c numIter==0


_buffer_load_b64 v[vgprG2LB+0:vgprG2LB+0+1], v[vgprGlobalReadOffsetB+0], s[sgprSrdB:sgprSrdB+3], 0, offen offset:0 // G -> Reg 0_0_0_0
_buffer_load_b64 v[vgprG2LB+2:vgprG2LB+2+1], v[vgprGlobalReadOffsetB+1], s[sgprSrdB:sgprSrdB+3], 0, offen offset:0 // G -> Reg 0_0_1_0
_buffer_load_b64 v[vgprG2LB+4:vgprG2LB+4+1], v[vgprGlobalReadOffsetB+2], s[sgprSrdB:sgprSrdB+3], 0, offen offset:0 // G -> Reg 0_0_2_0
_buffer_load_b64 v[vgprG2LB+6:vgprG2LB+6+1], v[vgprGlobalReadOffsetB+3], s[sgprSrdB:sgprSrdB+3], 0, offen offset:0 // G -> Reg 0_0_3_0
_buffer_load_b64 v[vgprG2LB+8:vgprG2LB+8+1], v[vgprGlobalReadOffsetB+4], s[sgprSrdB:sgprSrdB+3], 0, offen offset:0 // G -> Reg 0_0_4_0
_buffer_load_b64 v[vgprG2LB+10:vgprG2LB+10+1], v[vgprGlobalReadOffsetB+5], s[sgprSrdB:sgprSrdB+3], 0, offen offset:0 // G -> Reg 0_0_5_0
_buffer_load_b64 v[vgprG2LB+12:vgprG2LB+12+1], v[vgprGlobalReadOffsetB+6], s[sgprSrdB:sgprSrdB+3], 0, offen offset:0 // G -> Reg 0_0_6_0
_buffer_load_b64 v[vgprG2LB+14:vgprG2LB+14+1], v[vgprGlobalReadOffsetB+7], s[sgprSrdB:sgprSrdB+3], 0, offen offset:0 // G -> Reg 0_0_7_0


_buffer_load_b64 v[vgprG2LA0+0:vgprG2LA0+0+1], v[vgprGlobalReadOffsetA+0], s[sgprSrdA:sgprSrdA+3], 0, offen offset:0 // G -> Reg 0_0_0_0
_buffer_load_b64 v[vgprG2LA0+2:vgprG2LA0+2+1], v[vgprGlobalReadOffsetA+1], s[sgprSrdA:sgprSrdA+3], 0, offen offset:0 // G -> Reg 0_0_1_0
_buffer_load_b64 v[vgprG2LA0+4:vgprG2LA0+4+1], v[vgprGlobalReadOffsetA+2], s[sgprSrdA:sgprSrdA+3], 0, offen offset:0 // G -> Reg 0_0_2_0
_buffer_load_b64 v[vgprG2LA0+6:vgprG2LA0+6+1], v[vgprGlobalReadOffsetA+3], s[sgprSrdA:sgprSrdA+3], 0, offen offset:0 // G -> Reg 0_0_3_0
_buffer_load_b64 v[vgprG2LA0+8:vgprG2LA0+8+1], v[vgprGlobalReadOffsetA+4], s[sgprSrdA:sgprSrdA+3], 0, offen offset:0 // G -> Reg 0_0_4_0
_buffer_load_b64 v[vgprG2LA0+10:vgprG2LA0+10+1], v[vgprGlobalReadOffsetA+5], s[sgprSrdA:sgprSrdA+3], 0, offen offset:0 // G -> Reg 0_0_5_0
_buffer_load_b64 v[vgprG2LA0+12:vgprG2LA0+12+1], v[vgprGlobalReadOffsetA+6], s[sgprSrdA:sgprSrdA+3], 0, offen offset:0 // G -> Reg 0_0_6_0
_buffer_load_b64 v[vgprG2LA0+14:vgprG2LA0+14+1], v[vgprGlobalReadOffsetA+7], s[sgprSrdA:sgprSrdA+3], 0, offen offset:0 // G -> Reg 0_0_7_0
_buffer_load_b64 v[vgprG2LA0+16:vgprG2LA0+16+1], v[vgprGlobalReadOffsetA+8], s[sgprSrdA:sgprSrdA+3], 0, offen offset:0 // G -> Reg 0_0_8_0
_buffer_load_b64 v[vgprG2LA0+18:vgprG2LA0+18+1], v[vgprGlobalReadOffsetA+9], s[sgprSrdA:sgprSrdA+3], 0, offen offset:0 // G -> Reg 0_0_9_0
_buffer_load_b64 v[vgprG2LA0+20:vgprG2LA0+20+1], v[vgprGlobalReadOffsetA+10], s[sgprSrdA:sgprSrdA+3], 0, offen offset:0 // G -> Reg 0_0_10_0
_buffer_load_b64 v[vgprG2LA0+22:vgprG2LA0+22+1], v[vgprGlobalReadOffsetA+11], s[sgprSrdA:sgprSrdA+3], 0, offen offset:0 // G -> Reg 0_0_11_0
_buffer_load_b64 v[vgprG2LA0+24:vgprG2LA0+24+1], v[vgprGlobalReadOffsetA+12], s[sgprSrdA:sgprSrdA+3], 0, offen offset:0 // G -> Reg 0_0_12_0
_buffer_load_b64 v[vgprG2LA0+26:vgprG2LA0+26+1], v[vgprGlobalReadOffsetA+13], s[sgprSrdA:sgprSrdA+3], 0, offen offset:0 // G -> Reg 0_0_13_0
_buffer_load_b64 v[vgprG2LA0+28:vgprG2LA0+28+1], v[vgprGlobalReadOffsetA+14], s[sgprSrdA:sgprSrdA+3], 0, offen offset:0 // G -> Reg 0_0_14_0
_buffer_load_b64 v[vgprG2LA0+30:vgprG2LA0+30+1], v[vgprGlobalReadOffsetA+15], s[sgprSrdA:sgprSrdA+3], 0, offen offset:0 // G -> Reg 0_0_15_0


/* global read inc A loopL */
s_add_u32 s[sgprSrdA+0], s[sgprSrdA+0], s[sgprGlobalReadIncsA+0] // gra SRD += inc(lower)
s_addc_u32  s[sgprSrdA+1], s[sgprSrdA+1], 0        // gra SRD += inc(upper)
s_sub_u32 s[sgprShadowLimitA+0], s[sgprShadowLimitA+0], s[sgprGlobalReadIncsA+0] // limit -= inc)
s_subb_u32 s[sgprShadowLimitA+1], s[sgprShadowLimitA+1], 0 // limit -= inc)
s_cmp_eq_u32 s[sgprShadowLimitA+1], 0              // are we within 2^32?
s_cmov_b32 s[sgprSrdA+2], s[sgprShadowLimitA+0]    // Move shadow to real if we are within 2^32

/* global read inc B loopL */
s_add_u32 s[sgprSrdB+0], s[sgprSrdB+0], s[sgprGlobalReadIncsB+0] // gra SRD += inc(lower)
s_addc_u32  s[sgprSrdB+1], s[sgprSrdB+1], 0        // gra SRD += inc(upper)
s_sub_u32 s[sgprShadowLimitB+0], s[sgprShadowLimitB+0], s[sgprGlobalReadIncsB+0] // limit -= inc)
s_subb_u32 s[sgprShadowLimitB+1], s[sgprShadowLimitB+1], 0 // limit -= inc)
s_cmp_eq_u32 s[sgprShadowLimitB+1], 0              // are we within 2^32?
s_cmov_b32 s[sgprSrdB+2], s[sgprShadowLimitB+0]    // Move shadow to real if we are within 2^32


/******************************************/
/* End setupNewTile, isPap=False             */
/******************************************/

ShadowInitStart_10: // 

s_mov_b32 s[sgprSrdD+2], BufferOOB                 // 
s_mov_b32 s[sgprSrdD+3], Srd127_96                 // Set bits 127_96 in post-loop SRD

s_mov_b32 s[sgprSrdC+2], BufferOOB                 // 
s_mov_b32 s[sgprSrdC+3], Srd127_96                 // Set bits 127_96 in post-loop SRD


s_mul_i32 s58, MT1, s[sgprWorkGroup1]              // <- wg1*MT1
s_mul_hi_u32 s57, s58, s[sgprStrideC1J]            // CScale s58 by Stride
s_mul_i32 s56, s58, s[sgprStrideC1J]               // CScale s58 by Stride
s_lshl_b64 s[56:57], s[56:57], 1                   // scale by bpe
s_add_u32 s[sgprSrdC+0], s[sgprSrdC+0], s56        // add lo to SRD
s_addc_u32 s[sgprSrdC+1], s[sgprSrdC+1], s57       // add hi to SRD
s_mul_hi_u32 s57, s58, s[sgprStrideD1J]            // Scale s58 by Stride
s_mul_i32 s56, s58, s[sgprStrideD1J]               // Scale s58 by Stride
s_lshl_b64 s[56:57], s[56:57], 1                   // scale by bpe
s_add_u32 s[sgprSrdD+0], s[sgprSrdD+0], s56        // add lo to SRD
s_addc_u32 s[sgprSrdD+1], s[sgprSrdD+1], s57       // add hi to SRD

s_mul_hi_u32 s57, s[sgprWorkGroup2], s[sgprStrideCK] // CScale s[sgprWorkGroup2] by Stride
s_mul_i32 s56, s[sgprWorkGroup2], s[sgprStrideCK]  // CScale s[sgprWorkGroup2] by Stride
s_lshl_b64 s[56:57], s[56:57], 1                   // scale by bpe
s_add_u32 s[sgprSrdC+0], s[sgprSrdC+0], s56        // add lo to SRD
s_addc_u32 s[sgprSrdC+1], s[sgprSrdC+1], s57       // add hi to SRD
s_mul_hi_u32 s57, s[sgprWorkGroup2], s[sgprStrideDK] // Scale s[sgprWorkGroup2] by Stride
s_mul_i32 s56, s[sgprWorkGroup2], s[sgprStrideDK]  // Scale s[sgprWorkGroup2] by Stride
s_lshl_b64 s[56:57], s[56:57], 1                   // scale by bpe
s_add_u32 s[sgprSrdD+0], s[sgprSrdD+0], s56        // add lo to SRD
s_addc_u32 s[sgprSrdD+1], s[sgprSrdD+1], s57       // add hi to SRD


	;; [unrolled: 1-line block ×3, first 2 shown]
/* initC: remove C-tile 0-0 from pool */

/* initC: remove AB-tile 0-152 from pool */
v_accvgpr_write acc0, 0x0                          // initC
v_accvgpr_write acc1, 0x0                          // initC
v_accvgpr_write acc2, 0x0                          // initC
v_accvgpr_write acc3, 0x0                          // initC
v_accvgpr_write acc4, 0x0                          // initC
v_accvgpr_write acc5, 0x0                          // initC
v_accvgpr_write acc6, 0x0                          // initC
v_accvgpr_write acc7, 0x0                          // initC
v_accvgpr_write acc8, 0x0                          // initC
v_accvgpr_write acc9, 0x0                          // initC
v_accvgpr_write acc10, 0x0                         // initC
v_accvgpr_write acc11, 0x0                         // initC
v_accvgpr_write acc12, 0x0                         // initC
v_accvgpr_write acc13, 0x0                         // initC
v_accvgpr_write acc14, 0x0                         // initC
v_accvgpr_write acc15, 0x0                         // initC
v_accvgpr_write acc16, 0x0                         // initC
v_accvgpr_write acc17, 0x0                         // initC
v_accvgpr_write acc18, 0x0                         // initC
v_accvgpr_write acc19, 0x0                         // initC
v_accvgpr_write acc20, 0x0                         // initC
v_accvgpr_write acc21, 0x0                         // initC
v_accvgpr_write acc22, 0x0                         // initC
v_accvgpr_write acc23, 0x0                         // initC
v_accvgpr_write acc24, 0x0                         // initC
v_accvgpr_write acc25, 0x0                         // initC
v_accvgpr_write acc26, 0x0                         // initC
v_accvgpr_write acc27, 0x0                         // initC
v_accvgpr_write acc28, 0x0                         // initC
v_accvgpr_write acc29, 0x0                         // initC
v_accvgpr_write acc30, 0x0                         // initC
v_accvgpr_write acc31, 0x0                         // initC
v_accvgpr_write acc32, 0x0                         // initC
v_accvgpr_write acc33, 0x0                         // initC
v_accvgpr_write acc34, 0x0                         // initC
v_accvgpr_write acc35, 0x0                         // initC
v_accvgpr_write acc36, 0x0                         // initC
v_accvgpr_write acc37, 0x0                         // initC
v_accvgpr_write acc38, 0x0                         // initC
v_accvgpr_write acc39, 0x0                         // initC
v_accvgpr_write acc40, 0x0                         // initC
v_accvgpr_write acc41, 0x0                         // initC
v_accvgpr_write acc42, 0x0                         // initC
v_accvgpr_write acc43, 0x0                         // initC
v_accvgpr_write acc44, 0x0                         // initC
v_accvgpr_write acc45, 0x0                         // initC
v_accvgpr_write acc46, 0x0                         // initC
v_accvgpr_write acc47, 0x0                         // initC
v_accvgpr_write acc48, 0x0                         // initC
v_accvgpr_write acc49, 0x0                         // initC
v_accvgpr_write acc50, 0x0                         // initC
v_accvgpr_write acc51, 0x0                         // initC
v_accvgpr_write acc52, 0x0                         // initC
v_accvgpr_write acc53, 0x0                         // initC
v_accvgpr_write acc54, 0x0                         // initC
v_accvgpr_write acc55, 0x0                         // initC
v_accvgpr_write acc56, 0x0                         // initC
v_accvgpr_write acc57, 0x0                         // initC
v_accvgpr_write acc58, 0x0                         // initC
v_accvgpr_write acc59, 0x0                         // initC
v_accvgpr_write acc60, 0x0                         // initC
v_accvgpr_write acc61, 0x0                         // initC
v_accvgpr_write acc62, 0x0                         // initC
v_accvgpr_write acc63, 0x0                         // initC
v_accvgpr_write acc64, 0x0                         // initC
v_accvgpr_write acc65, 0x0                         // initC
v_accvgpr_write acc66, 0x0                         // initC
v_accvgpr_write acc67, 0x0                         // initC
v_accvgpr_write acc68, 0x0                         // initC
v_accvgpr_write acc69, 0x0                         // initC
v_accvgpr_write acc70, 0x0                         // initC
v_accvgpr_write acc71, 0x0                         // initC
v_accvgpr_write acc72, 0x0                         // initC
v_accvgpr_write acc73, 0x0                         // initC
v_accvgpr_write acc74, 0x0                         // initC
v_accvgpr_write acc75, 0x0                         // initC
v_accvgpr_write acc76, 0x0                         // initC
v_accvgpr_write acc77, 0x0                         // initC
v_accvgpr_write acc78, 0x0                         // initC
v_accvgpr_write acc79, 0x0                         // initC
v_accvgpr_write acc80, 0x0                         // initC
v_accvgpr_write acc81, 0x0                         // initC
v_accvgpr_write acc82, 0x0                         // initC
v_accvgpr_write acc83, 0x0                         // initC
v_accvgpr_write acc84, 0x0                         // initC
v_accvgpr_write acc85, 0x0                         // initC
v_accvgpr_write acc86, 0x0                         // initC
v_accvgpr_write acc87, 0x0                         // initC
v_accvgpr_write acc88, 0x0                         // initC
v_accvgpr_write acc89, 0x0                         // initC
v_accvgpr_write acc90, 0x0                         // initC
v_accvgpr_write acc91, 0x0                         // initC
v_accvgpr_write acc92, 0x0                         // initC
v_accvgpr_write acc93, 0x0                         // initC
v_accvgpr_write acc94, 0x0                         // initC
v_accvgpr_write acc95, 0x0                         // initC
v_accvgpr_write acc96, 0x0                         // initC
v_accvgpr_write acc97, 0x0                         // initC
v_accvgpr_write acc98, 0x0                         // initC
v_accvgpr_write acc99, 0x0                         // initC
v_accvgpr_write acc100, 0x0                        // initC
v_accvgpr_write acc101, 0x0                        // initC
v_accvgpr_write acc102, 0x0                        // initC
v_accvgpr_write acc103, 0x0                        // initC
v_accvgpr_write acc104, 0x0                        // initC
v_accvgpr_write acc105, 0x0                        // initC
v_accvgpr_write acc106, 0x0                        // initC
v_accvgpr_write acc107, 0x0                        // initC
v_accvgpr_write acc108, 0x0                        // initC
v_accvgpr_write acc109, 0x0                        // initC
v_accvgpr_write acc110, 0x0                        // initC
v_accvgpr_write acc111, 0x0                        // initC
v_accvgpr_write acc112, 0x0                        // initC
v_accvgpr_write acc113, 0x0                        // initC
v_accvgpr_write acc114, 0x0                        // initC
v_accvgpr_write acc115, 0x0                        // initC
v_accvgpr_write acc116, 0x0                        // initC
v_accvgpr_write acc117, 0x0                        // initC
v_accvgpr_write acc118, 0x0                        // initC
v_accvgpr_write acc119, 0x0                        // initC
v_accvgpr_write acc120, 0x0                        // initC
v_accvgpr_write acc121, 0x0                        // initC
v_accvgpr_write acc122, 0x0                        // initC
v_accvgpr_write acc123, 0x0                        // initC
v_accvgpr_write acc124, 0x0                        // initC
v_accvgpr_write acc125, 0x0                        // initC
v_accvgpr_write acc126, 0x0                        // initC
v_accvgpr_write acc127, 0x0                        // initC

s_cmp_eq_u32 s[sgprLoopCounterL], 0                // at last iteration?

/* after InitC, skip to end of prefetch last iter if numIter==0 */
s_cbranch_scc0 label_NoBranch_11                   // Only branch on scc1
s_getpc_B64 s[56:57]                               // addr of next instr
s_add_i32 s58, PrefetchGlobalLastIterEnd_5, 0x4    // target branch offset
s_add_u32 s56, s56, s58                            // add target branch offset
s_addc_u32 s57, s57, 0                             // add high and carry
s_setpc_b64 s[56:57]                               // branch to PrefetchGlobalLastIterEnd_5
label_NoBranch_11:

s_waitcnt vmcnt(16)                                // lgkmcnt=-1 vmcnt=16 8wait for global read


/* local write a */

/* local write b */
_ds_store_b64 v[vgprLocalWriteAddrB], v[vgprG2LB+0:vgprG2LB+0+1] offset:0 // lwoB_0_0_0_0 = (0*LSCB) + (0*LSPB)(*MT1J+PAD) = 0
_ds_store_b64 v[vgprLocalWriteAddrB], v[vgprG2LB+2:vgprG2LB+2+1] offset:2048 // lwoB_0_0_1_0 = (0*LSCB) + (1*LSPB)(*MT1J+PAD) = 2048
_ds_store_b64 v[vgprLocalWriteAddrB], v[vgprG2LB+4:vgprG2LB+4+1] offset:4096 // lwoB_0_0_2_0 = (0*LSCB) + (2*LSPB)(*MT1J+PAD) = 4096
_ds_store_b64 v[vgprLocalWriteAddrB], v[vgprG2LB+6:vgprG2LB+6+1] offset:6144 // lwoB_0_0_3_0 = (0*LSCB) + (3*LSPB)(*MT1J+PAD) = 6144
_ds_store_b64 v[vgprLocalWriteAddrB], v[vgprG2LB+8:vgprG2LB+8+1] offset:8192 // lwoB_0_0_4_0 = (0*LSCB) + (4*LSPB)(*MT1J+PAD) = 8192
_ds_store_b64 v[vgprLocalWriteAddrB], v[vgprG2LB+10:vgprG2LB+10+1] offset:10240 // lwoB_0_0_5_0 = (0*LSCB) + (5*LSPB)(*MT1J+PAD) = 10240
_ds_store_b64 v[vgprLocalWriteAddrB], v[vgprG2LB+12:vgprG2LB+12+1] offset:12288 // lwoB_0_0_6_0 = (0*LSCB) + (6*LSPB)(*MT1J+PAD) = 12288
_ds_store_b64 v[vgprLocalWriteAddrB], v[vgprG2LB+14:vgprG2LB+14+1] offset:14336 // lwoB_0_0_7_0 = (0*LSCB) + (7*LSPB)(*MT1J+PAD) = 14336


/* local write swap a */


	;; [unrolled: 1-line block ×3, first 2 shown]
/* local write swap b */




s_waitcnt lgkmcnt(0)                               // lgkmcnt=0 vmcnt=-10prefetch wait for local write

s_waitcnt lgkmcnt(0) & vmcnt(0)                    // force waitcnt0
s_barrier //


/* local read prefetch a */


	;; [unrolled: 1-line block ×3, first 2 shown]
/* local read prefetch b */

_ds_load_b64 v[vgprValuB_X0_I0_D0+0:vgprValuB_X0_I0_D0+0+1], v[vgprLocalReadAddrB] offset:0 // L -> Reg lro=0 swapByteOffset=0 ti=64 vIdx=0 rIdx=0 oIdx=0 buffer=0 iui=0
_ds_load_b64 v[vgprValuB_X0_I0_D1+0:vgprValuB_X0_I0_D1+0+1], v[vgprLocalReadAddrB] offset:256 // L -> Reg lro=0 swapByteOffset=0 ti=64 vIdx=0 rIdx=1 oIdx=0 buffer=0 iui=0
_ds_load_b64 v[vgprValuB_X0_I0_D2+0:vgprValuB_X0_I0_D2+0+1], v[vgprLocalReadAddrB] offset:512 // L -> Reg lro=0 swapByteOffset=0 ti=64 vIdx=0 rIdx=2 oIdx=0 buffer=0 iui=0
_ds_load_b64 v[vgprValuB_X0_I0_D3+0:vgprValuB_X0_I0_D3+0+1], v[vgprLocalReadAddrB] offset:768 // L -> Reg lro=0 swapByteOffset=0 ti=64 vIdx=0 rIdx=3 oIdx=0 buffer=0 iui=0
_ds_load_b64 v[vgprValuB_X0_I0_D0+2:vgprValuB_X0_I0_D0+2+1], v[vgprLocalReadAddrB] offset:128 // L -> Reg lro=0 swapByteOffset=0 ti=64 vIdx=1 rIdx=0 oIdx=0 buffer=0 iui=0
_ds_load_b64 v[vgprValuB_X0_I0_D1+2:vgprValuB_X0_I0_D1+2+1], v[vgprLocalReadAddrB] offset:384 // L -> Reg lro=0 swapByteOffset=0 ti=64 vIdx=1 rIdx=1 oIdx=0 buffer=0 iui=0
_ds_load_b64 v[vgprValuB_X0_I0_D2+2:vgprValuB_X0_I0_D2+2+1], v[vgprLocalReadAddrB] offset:640 // L -> Reg lro=0 swapByteOffset=0 ti=64 vIdx=1 rIdx=2 oIdx=0 buffer=0 iui=0
_ds_load_b64 v[vgprValuB_X0_I0_D3+2:vgprValuB_X0_I0_D3+2+1], v[vgprLocalReadAddrB] offset:896 // L -> Reg lro=0 swapByteOffset=0 ti=64 vIdx=1 rIdx=3 oIdx=0 buffer=0 iui=0


/* local read inc a */


	;; [unrolled: 1-line block ×3, first 2 shown]
/* local read inc b */

/* N/A, lro->2048 */
/* self.localReadDoCntA 1 self.localReadDoCntB 1 */


	;; [unrolled: 1-line block ×3, first 2 shown]
/******************************************/
/* Unrolled Loop(s) - Begin               */
/******************************************/

openLoopL_12:
s_cmp_le_u32 s[sgprLoopCounterL], 0x1              // LoopCounterL < EndCounter
s_cbranch_scc1 LoopEndL_2                          // do not enter LoopL
LoopBeginL_1:


/******************************************/
/* Unrolled Loop 1/2 - Begin              */
/******************************************/

label_0013: // LoopCopy1 


/* Begin Each Unroll: Check VGPR.checkin for INT8 LW */


	;; [unrolled: 1-line block ×3, first 2 shown]
/* iter 0 */

s_waitcnt vmcnt(12)                                // lgkmcnt=-1 vmcnt=12global read wait for DirectToVgpr

/*  grEndMfmaIndex:108, lwStartMfmaIndex:108, lwEndMfmaIndex:108  */
/*  numMfmaForLR:13, barrierMfmaIndex:114 */
/*  mfmaIndex:0  */
_buffer_load_b64 v[vgprG2LB+0:vgprG2LB+0+1], v[vgprGlobalReadOffsetB+0], s[sgprSrdB:sgprSrdB+3], 0, offen offset:0 // G -> Reg 0_0_0_0
s_waitcnt lgkmcnt(0)                               // lgkmcnt=0 vmcnt=-1wait for prior local read local write old=0, new=0 newLW=0 newLR=0
/* pack scheduling: packAIdx:2, packBIdx:2 */
v_perm_b32 v[vgprValuA_X0_I0+0], v[vgprValuA_X0_I0_D1+0], v[vgprValuA_X0_I0_D0+0], s[sgprPackKForV0] // select K=01 for vector=0
v_perm_b32 v[vgprValuA_X0_I0+1], v[vgprValuA_X0_I0_D3+0], v[vgprValuA_X0_I0_D2+0], s[sgprPackKForV0] // select K=23 for vector=0
v_perm_b32 v[vgprValuB_X0_I0+0], v[vgprValuB_X0_I0_D1+0], v[vgprValuB_X0_I0_D0+0], s[sgprPackKForV0] // select K=01 for vector=0
v_perm_b32 v[vgprValuB_X0_I0+1], v[vgprValuB_X0_I0_D3+0], v[vgprValuB_X0_I0_D2+0], s[sgprPackKForV0] // select K=23 for vector=0
v_perm_b32 v[vgprValuA_X0_I0+2], v[vgprValuA_X0_I0_D1+0], v[vgprValuA_X0_I0_D0+0], s[sgprPackKForV1] // select K=01 for vector=1
v_perm_b32 v[vgprValuA_X0_I0+3], v[vgprValuA_X0_I0_D3+0], v[vgprValuA_X0_I0_D2+0], s[sgprPackKForV1] // select K=23 for vector=1
v_mfma_f32_16x16x16_f16 a[0+0:3+0], v[vgprValuB_X0_I0+0+0+0:vgprValuB_X0_I0+0+0+0+1], v[vgprValuA_X0_I0+0+0+0:vgprValuA_X0_I0+0+0+0+1], a[0:3]
/*  mfmaIndex:1  */
_ds_load_b64 v[vgprValuB_X1_I0_D0+0:vgprValuB_X1_I0_D0+0+1], v[vgprLocalReadAddrB] offset:4096 // L -> Reg lro=2048 swapByteOffset=0 ti=64 vIdx=0 rIdx=0 oIdx=0 buffer=1 iui=0
s_setprio 3                                        // store optimization
/* pack scheduling: packAIdx:4, packBIdx:2 */
v_perm_b32 v[vgprValuA_X0_I0+4], v[vgprValuA_X0_I0_D1+1], v[vgprValuA_X0_I0_D0+1], s[sgprPackKForV0] // select K=01 for vector=0
v_perm_b32 v[vgprValuA_X0_I0+5], v[vgprValuA_X0_I0_D3+1], v[vgprValuA_X0_I0_D2+1], s[sgprPackKForV0] // select K=23 for vector=0
v_mfma_f32_16x16x16_f16 a[4+0:7+0], v[vgprValuB_X0_I0+0+0+0:vgprValuB_X0_I0+0+0+0+1], v[vgprValuA_X0_I0+2+0+0:vgprValuA_X0_I0+2+0+0+1], a[4:7]
/*  mfmaIndex:2  */
_ds_load_b64 v[vgprValuB_X1_I0_D1+0:vgprValuB_X1_I0_D1+0+1], v[vgprLocalReadAddrB] offset:4352 // L -> Reg lro=2048 swapByteOffset=0 ti=64 vIdx=0 rIdx=1 oIdx=0 buffer=1 iui=0
/* pack scheduling: packAIdx:6, packBIdx:2 */
v_perm_b32 v[vgprValuA_X0_I0+6], v[vgprValuA_X0_I0_D1+1], v[vgprValuA_X0_I0_D0+1], s[sgprPackKForV1] // select K=01 for vector=1
v_perm_b32 v[vgprValuA_X0_I0+7], v[vgprValuA_X0_I0_D3+1], v[vgprValuA_X0_I0_D2+1], s[sgprPackKForV1] // select K=23 for vector=1
v_mfma_f32_16x16x16_f16 a[8+0:11+0], v[vgprValuB_X0_I0+0+0+0:vgprValuB_X0_I0+0+0+0+1], v[vgprValuA_X0_I0+4+0+0:vgprValuA_X0_I0+4+0+0+1], a[8:11]
/*  mfmaIndex:3  */
_ds_load_b64 v[vgprValuB_X1_I0_D2+0:vgprValuB_X1_I0_D2+0+1], v[vgprLocalReadAddrB] offset:4608 // L -> Reg lro=2048 swapByteOffset=0 ti=64 vIdx=0 rIdx=2 oIdx=0 buffer=1 iui=0
/* pack scheduling: packAIdx:8, packBIdx:2 */
v_perm_b32 v[vgprValuB_X0_I0+2], v[vgprValuB_X0_I0_D1+0], v[vgprValuB_X0_I0_D0+0], s[sgprPackKForV1] // select K=01 for vector=1
v_perm_b32 v[vgprValuB_X0_I0+3], v[vgprValuB_X0_I0_D3+0], v[vgprValuB_X0_I0_D2+0], s[sgprPackKForV1] // select K=23 for vector=1
v_mfma_f32_16x16x16_f16 a[12+0:15+0], v[vgprValuB_X0_I0+0+0+0:vgprValuB_X0_I0+0+0+0+1], v[vgprValuA_X0_I0+6+0+0:vgprValuA_X0_I0+6+0+0+1], a[12:15]
/*  mfmaIndex:4  */
_ds_load_b64 v[vgprValuB_X1_I0_D3+0:vgprValuB_X1_I0_D3+0+1], v[vgprLocalReadAddrB] offset:4864 // L -> Reg lro=2048 swapByteOffset=0 ti=64 vIdx=0 rIdx=3 oIdx=0 buffer=1 iui=0
/* pack scheduling: packAIdx:8, packBIdx:4 */
v_perm_b32 v[vgprValuB_X0_I0+4], v[vgprValuB_X0_I0_D1+1], v[vgprValuB_X0_I0_D0+1], s[sgprPackKForV0] // select K=01 for vector=0
v_perm_b32 v[vgprValuB_X0_I0+5], v[vgprValuB_X0_I0_D3+1], v[vgprValuB_X0_I0_D2+1], s[sgprPackKForV0] // select K=23 for vector=0
v_mfma_f32_16x16x16_f16 a[28+0:31+0], v[vgprValuB_X0_I0+2+0+0:vgprValuB_X0_I0+2+0+0+1], v[vgprValuA_X0_I0+6+0+0:vgprValuA_X0_I0+6+0+0+1], a[28:31]
/*  mfmaIndex:5  */
_ds_load_b64 v[vgprValuB_X1_I0_D0+2:vgprValuB_X1_I0_D0+2+1], v[vgprLocalReadAddrB] offset:4224 // L -> Reg lro=2048 swapByteOffset=0 ti=64 vIdx=1 rIdx=0 oIdx=0 buffer=1 iui=0
_buffer_load_b64 v[vgprG2LB+2:vgprG2LB+2+1], v[vgprGlobalReadOffsetB+1], s[sgprSrdB:sgprSrdB+3], 0, offen offset:0 // G -> Reg 0_0_1_0
/* pack scheduling: packAIdx:8, packBIdx:4 */
v_perm_b32 v[vgprValuB_X0_I0+6], v[vgprValuB_X0_I0_D1+1], v[vgprValuB_X0_I0_D0+1], s[sgprPackKForV1] // select K=01 for vector=1
v_perm_b32 v[vgprValuB_X0_I0+7], v[vgprValuB_X0_I0_D3+1], v[vgprValuB_X0_I0_D2+1], s[sgprPackKForV1] // select K=23 for vector=1
v_mfma_f32_16x16x16_f16 a[24+0:27+0], v[vgprValuB_X0_I0+2+0+0:vgprValuB_X0_I0+2+0+0+1], v[vgprValuA_X0_I0+4+0+0:vgprValuA_X0_I0+4+0+0+1], a[24:27]
/*  mfmaIndex:6  */
_ds_load_b64 v[vgprValuB_X1_I0_D1+2:vgprValuB_X1_I0_D1+2+1], v[vgprLocalReadAddrB] offset:4480 // L -> Reg lro=2048 swapByteOffset=0 ti=64 vIdx=1 rIdx=1 oIdx=0 buffer=1 iui=0
/* pack scheduling: packAIdx:8, packBIdx:4 */
v_perm_b32 v[vgprValuB_X0_I0+8], v[vgprValuB_X0_I0_D1+2], v[vgprValuB_X0_I0_D0+2], s[sgprPackKForV0] // select K=01 for vector=0
v_perm_b32 v[vgprValuB_X0_I0+9], v[vgprValuB_X0_I0_D3+2], v[vgprValuB_X0_I0_D2+2], s[sgprPackKForV0] // select K=23 for vector=0
v_mfma_f32_16x16x16_f16 a[20+0:23+0], v[vgprValuB_X0_I0+2+0+0:vgprValuB_X0_I0+2+0+0+1], v[vgprValuA_X0_I0+2+0+0:vgprValuA_X0_I0+2+0+0+1], a[20:23]
/*  mfmaIndex:7  */
_ds_load_b64 v[vgprValuB_X1_I0_D2+2:vgprValuB_X1_I0_D2+2+1], v[vgprLocalReadAddrB] offset:4736 // L -> Reg lro=2048 swapByteOffset=0 ti=64 vIdx=1 rIdx=2 oIdx=0 buffer=1 iui=0
/* pack scheduling: packAIdx:8, packBIdx:4 */
v_perm_b32 v[vgprValuB_X0_I0+10], v[vgprValuB_X0_I0_D1+2], v[vgprValuB_X0_I0_D0+2], s[sgprPackKForV1] // select K=01 for vector=1
v_perm_b32 v[vgprValuB_X0_I0+11], v[vgprValuB_X0_I0_D3+2], v[vgprValuB_X0_I0_D2+2], s[sgprPackKForV1] // select K=23 for vector=1
v_mfma_f32_16x16x16_f16 a[16+0:19+0], v[vgprValuB_X0_I0+2+0+0:vgprValuB_X0_I0+2+0+0+1], v[vgprValuA_X0_I0+0+0+0:vgprValuA_X0_I0+0+0+0+1], a[16:19]
/*  mfmaIndex:8  */
_ds_load_b64 v[vgprValuB_X1_I0_D3+2:vgprValuB_X1_I0_D3+2+1], v[vgprLocalReadAddrB] offset:4992 // L -> Reg lro=2048 swapByteOffset=0 ti=64 vIdx=1 rIdx=3 oIdx=0 buffer=1 iui=0
/* pack scheduling: packAIdx:8, packBIdx:6 */
v_perm_b32 v[vgprValuB_X0_I0+12], v[vgprValuB_X0_I0_D1+3], v[vgprValuB_X0_I0_D0+3], s[sgprPackKForV0] // select K=01 for vector=0
v_perm_b32 v[vgprValuB_X0_I0+13], v[vgprValuB_X0_I0_D3+3], v[vgprValuB_X0_I0_D2+3], s[sgprPackKForV0] // select K=23 for vector=0
v_mfma_f32_16x16x16_f16 a[32+0:35+0], v[vgprValuB_X0_I0+4+0+0:vgprValuB_X0_I0+4+0+0+1], v[vgprValuA_X0_I0+0+0+0:vgprValuA_X0_I0+0+0+0+1], a[32:35]
/*  mfmaIndex:9  */
/* localReadsVacancy: latencyLeft 2 */
_ds_load_b64 v[vgprValuB_X2_I0_D0+0:vgprValuB_X2_I0_D0+0+1], v[vgprLocalReadAddrB] offset:8192 // L -> Reg lro=4096 swapByteOffset=0 ti=64 vIdx=0 rIdx=0 oIdx=0 buffer=2 iui=0
/* pack scheduling: packAIdx:8, packBIdx:6 */
v_perm_b32 v[vgprValuB_X0_I0+14], v[vgprValuB_X0_I0_D1+3], v[vgprValuB_X0_I0_D0+3], s[sgprPackKForV1] // select K=01 for vector=1
v_perm_b32 v[vgprValuB_X0_I0+15], v[vgprValuB_X0_I0_D3+3], v[vgprValuB_X0_I0_D2+3], s[sgprPackKForV1] // select K=23 for vector=1
v_mfma_f32_16x16x16_f16 a[36+0:39+0], v[vgprValuB_X0_I0+4+0+0:vgprValuB_X0_I0+4+0+0+1], v[vgprValuA_X0_I0+2+0+0:vgprValuA_X0_I0+2+0+0+1], a[36:39]
/*  mfmaIndex:10  */
/* localReadsVacancy: latencyLeft 2 */
_ds_load_b64 v[vgprValuB_X2_I0_D1+0:vgprValuB_X2_I0_D1+0+1], v[vgprLocalReadAddrB] offset:8448 // L -> Reg lro=4096 swapByteOffset=0 ti=64 vIdx=0 rIdx=1 oIdx=0 buffer=2 iui=0
_buffer_load_b64 v[vgprG2LB+4:vgprG2LB+4+1], v[vgprGlobalReadOffsetB+2], s[sgprSrdB:sgprSrdB+3], 0, offen offset:0 // G -> Reg 0_0_2_0
v_mfma_f32_16x16x16_f16 a[40+0:43+0], v[vgprValuB_X0_I0+4+0+0:vgprValuB_X0_I0+4+0+0+1], v[vgprValuA_X0_I0+4+0+0:vgprValuA_X0_I0+4+0+0+1], a[40:43]
/*  mfmaIndex:11  */
/* localReadsVacancy: latencyLeft 2 */
_ds_load_b64 v[vgprValuB_X2_I0_D2+0:vgprValuB_X2_I0_D2+0+1], v[vgprLocalReadAddrB] offset:8704 // L -> Reg lro=4096 swapByteOffset=0 ti=64 vIdx=0 rIdx=2 oIdx=0 buffer=2 iui=0
v_mfma_f32_16x16x16_f16 a[44+0:47+0], v[vgprValuB_X0_I0+4+0+0:vgprValuB_X0_I0+4+0+0+1], v[vgprValuA_X0_I0+6+0+0:vgprValuA_X0_I0+6+0+0+1], a[44:47]
/*  mfmaIndex:12  */
/* localReadsVacancy: latencyLeft 2 */
_ds_load_b64 v[vgprValuB_X2_I0_D3+0:vgprValuB_X2_I0_D3+0+1], v[vgprLocalReadAddrB] offset:8960 // L -> Reg lro=4096 swapByteOffset=0 ti=64 vIdx=0 rIdx=3 oIdx=0 buffer=2 iui=0
v_mfma_f32_16x16x16_f16 a[60+0:63+0], v[vgprValuB_X0_I0+6+0+0:vgprValuB_X0_I0+6+0+0+1], v[vgprValuA_X0_I0+6+0+0:vgprValuA_X0_I0+6+0+0+1], a[60:63]
/*  mfmaIndex:13  */
/* localReadsVacancy: latencyLeft 2 */
_ds_load_b64 v[vgprValuB_X2_I0_D0+2:vgprValuB_X2_I0_D0+2+1], v[vgprLocalReadAddrB] offset:8320 // L -> Reg lro=4096 swapByteOffset=0 ti=64 vIdx=1 rIdx=0 oIdx=0 buffer=2 iui=0
v_mfma_f32_16x16x16_f16 a[56+0:59+0], v[vgprValuB_X0_I0+6+0+0:vgprValuB_X0_I0+6+0+0+1], v[vgprValuA_X0_I0+4+0+0:vgprValuA_X0_I0+4+0+0+1], a[56:59]
/*  mfmaIndex:14  */
/* localReadsVacancy: latencyLeft 2 */
_ds_load_b64 v[vgprValuB_X2_I0_D1+2:vgprValuB_X2_I0_D1+2+1], v[vgprLocalReadAddrB] offset:8576 // L -> Reg lro=4096 swapByteOffset=0 ti=64 vIdx=1 rIdx=1 oIdx=0 buffer=2 iui=0
v_mfma_f32_16x16x16_f16 a[52+0:55+0], v[vgprValuB_X0_I0+6+0+0:vgprValuB_X0_I0+6+0+0+1], v[vgprValuA_X0_I0+2+0+0:vgprValuA_X0_I0+2+0+0+1], a[52:55]
/*  mfmaIndex:15  */
/* localReadsVacancy: latencyLeft 2 */
_ds_load_b64 v[vgprValuB_X2_I0_D2+2:vgprValuB_X2_I0_D2+2+1], v[vgprLocalReadAddrB] offset:8832 // L -> Reg lro=4096 swapByteOffset=0 ti=64 vIdx=1 rIdx=2 oIdx=0 buffer=2 iui=0
_buffer_load_b64 v[vgprG2LB+6:vgprG2LB+6+1], v[vgprGlobalReadOffsetB+3], s[sgprSrdB:sgprSrdB+3], 0, offen offset:0 // G -> Reg 0_0_3_0
v_mfma_f32_16x16x16_f16 a[48+0:51+0], v[vgprValuB_X0_I0+6+0+0:vgprValuB_X0_I0+6+0+0+1], v[vgprValuA_X0_I0+0+0+0:vgprValuA_X0_I0+0+0+0+1], a[48:51]
/*  mfmaIndex:16  */
/* localReadsVacancy: latencyLeft 2 */
_ds_load_b64 v[vgprValuB_X2_I0_D3+2:vgprValuB_X2_I0_D3+2+1], v[vgprLocalReadAddrB] offset:9088 // L -> Reg lro=4096 swapByteOffset=0 ti=64 vIdx=1 rIdx=3 oIdx=0 buffer=2 iui=0
v_mfma_f32_16x16x16_f16 a[64+0:67+0], v[vgprValuB_X0_I0+8+0+0:vgprValuB_X0_I0+8+0+0+1], v[vgprValuA_X0_I0+0+0+0:vgprValuA_X0_I0+0+0+0+1], a[64:67]
/*  mfmaIndex:17  */
/* localReadsVacancy: latencyLeft 2 */
_ds_load_b64 v[vgprValuB_X3_I0_D0+0:vgprValuB_X3_I0_D0+0+1], v[vgprLocalReadAddrB] offset:12288 // L -> Reg lro=6144 swapByteOffset=0 ti=64 vIdx=0 rIdx=0 oIdx=0 buffer=3 iui=0
v_mfma_f32_16x16x16_f16 a[68+0:71+0], v[vgprValuB_X0_I0+8+0+0:vgprValuB_X0_I0+8+0+0+1], v[vgprValuA_X0_I0+2+0+0:vgprValuA_X0_I0+2+0+0+1], a[68:71]
/*  mfmaIndex:18  */
/* localReadsVacancy: latencyLeft 2 */
_ds_load_b64 v[vgprValuB_X3_I0_D1+0:vgprValuB_X3_I0_D1+0+1], v[vgprLocalReadAddrB] offset:12544 // L -> Reg lro=6144 swapByteOffset=0 ti=64 vIdx=0 rIdx=1 oIdx=0 buffer=3 iui=0
v_mfma_f32_16x16x16_f16 a[72+0:75+0], v[vgprValuB_X0_I0+8+0+0:vgprValuB_X0_I0+8+0+0+1], v[vgprValuA_X0_I0+4+0+0:vgprValuA_X0_I0+4+0+0+1], a[72:75]
/*  mfmaIndex:19  */
/* localReadsVacancy: latencyLeft 2 */
_ds_load_b64 v[vgprValuB_X3_I0_D2+0:vgprValuB_X3_I0_D2+0+1], v[vgprLocalReadAddrB] offset:12800 // L -> Reg lro=6144 swapByteOffset=0 ti=64 vIdx=0 rIdx=2 oIdx=0 buffer=3 iui=0
v_mfma_f32_16x16x16_f16 a[76+0:79+0], v[vgprValuB_X0_I0+8+0+0:vgprValuB_X0_I0+8+0+0+1], v[vgprValuA_X0_I0+6+0+0:vgprValuA_X0_I0+6+0+0+1], a[76:79]
/*  mfmaIndex:20  */
/* localReadsVacancy: latencyLeft 2 */
_ds_load_b64 v[vgprValuB_X3_I0_D3+0:vgprValuB_X3_I0_D3+0+1], v[vgprLocalReadAddrB] offset:13056 // L -> Reg lro=6144 swapByteOffset=0 ti=64 vIdx=0 rIdx=3 oIdx=0 buffer=3 iui=0
_buffer_load_b64 v[vgprG2LB+8:vgprG2LB+8+1], v[vgprGlobalReadOffsetB+4], s[sgprSrdB:sgprSrdB+3], 0, offen offset:0 // G -> Reg 0_0_4_0
v_mfma_f32_16x16x16_f16 a[92+0:95+0], v[vgprValuB_X0_I0+10+0+0:vgprValuB_X0_I0+10+0+0+1], v[vgprValuA_X0_I0+6+0+0:vgprValuA_X0_I0+6+0+0+1], a[92:95]
/*  mfmaIndex:21  */
/* localReadsVacancy: latencyLeft 2 */
_ds_load_b64 v[vgprValuB_X3_I0_D0+2:vgprValuB_X3_I0_D0+2+1], v[vgprLocalReadAddrB] offset:12416 // L -> Reg lro=6144 swapByteOffset=0 ti=64 vIdx=1 rIdx=0 oIdx=0 buffer=3 iui=0
v_mfma_f32_16x16x16_f16 a[88+0:91+0], v[vgprValuB_X0_I0+10+0+0:vgprValuB_X0_I0+10+0+0+1], v[vgprValuA_X0_I0+4+0+0:vgprValuA_X0_I0+4+0+0+1], a[88:91]
/*  mfmaIndex:22  */
/* localReadsVacancy: latencyLeft 2 */
_ds_load_b64 v[vgprValuB_X3_I0_D1+2:vgprValuB_X3_I0_D1+2+1], v[vgprLocalReadAddrB] offset:12672 // L -> Reg lro=6144 swapByteOffset=0 ti=64 vIdx=1 rIdx=1 oIdx=0 buffer=3 iui=0
v_mfma_f32_16x16x16_f16 a[84+0:87+0], v[vgprValuB_X0_I0+10+0+0:vgprValuB_X0_I0+10+0+0+1], v[vgprValuA_X0_I0+2+0+0:vgprValuA_X0_I0+2+0+0+1], a[84:87]
/*  mfmaIndex:23  */
/* localReadsVacancy: latencyLeft 2 */
_ds_load_b64 v[vgprValuB_X3_I0_D2+2:vgprValuB_X3_I0_D2+2+1], v[vgprLocalReadAddrB] offset:12928 // L -> Reg lro=6144 swapByteOffset=0 ti=64 vIdx=1 rIdx=2 oIdx=0 buffer=3 iui=0
v_mfma_f32_16x16x16_f16 a[80+0:83+0], v[vgprValuB_X0_I0+10+0+0:vgprValuB_X0_I0+10+0+0+1], v[vgprValuA_X0_I0+0+0+0:vgprValuA_X0_I0+0+0+0+1], a[80:83]
/*  mfmaIndex:24  */
/* localReadsVacancy: latencyLeft 2 */
_ds_load_b64 v[vgprValuB_X3_I0_D3+2:vgprValuB_X3_I0_D3+2+1], v[vgprLocalReadAddrB] offset:13184 // L -> Reg lro=6144 swapByteOffset=0 ti=64 vIdx=1 rIdx=3 oIdx=0 buffer=3 iui=0
v_mfma_f32_16x16x16_f16 a[96+0:99+0], v[vgprValuB_X0_I0+12+0+0:vgprValuB_X0_I0+12+0+0+1], v[vgprValuA_X0_I0+0+0+0:vgprValuA_X0_I0+0+0+0+1], a[96:99]
/*  mfmaIndex:25  */
/* localReadsVacancy: latencyLeft 2 */
_buffer_load_b64 v[vgprG2LB+10:vgprG2LB+10+1], v[vgprGlobalReadOffsetB+5], s[sgprSrdB:sgprSrdB+3], 0, offen offset:0 // G -> Reg 0_0_5_0
v_mfma_f32_16x16x16_f16 a[100+0:103+0], v[vgprValuB_X0_I0+12+0+0:vgprValuB_X0_I0+12+0+0+1], v[vgprValuA_X0_I0+2+0+0:vgprValuA_X0_I0+2+0+0+1], a[100:103]
/*  mfmaIndex:26  */
/* localReadsVacancy: latencyLeft 2 */
v_mfma_f32_16x16x16_f16 a[104+0:107+0], v[vgprValuB_X0_I0+12+0+0:vgprValuB_X0_I0+12+0+0+1], v[vgprValuA_X0_I0+4+0+0:vgprValuA_X0_I0+4+0+0+1], a[104:107]
/*  mfmaIndex:27  */
/* localReadsVacancy: latencyLeft 2 */
	;; [unrolled: 3-line block ×5, first 2 shown]
_buffer_load_b64 v[vgprG2LB+12:vgprG2LB+12+1], v[vgprGlobalReadOffsetB+6], s[sgprSrdB:sgprSrdB+3], 0, offen offset:0 // G -> Reg 0_0_6_0
v_mfma_f32_16x16x16_f16 a[116+0:119+0], v[vgprValuB_X0_I0+14+0+0:vgprValuB_X0_I0+14+0+0+1], v[vgprValuA_X0_I0+2+0+0:vgprValuA_X0_I0+2+0+0+1], a[116:119]
/*  mfmaIndex:31  */
/* localReadsVacancy: latencyLeft 2 */
_buffer_load_b64 v[vgprG2LB+14:vgprG2LB+14+1], v[vgprGlobalReadOffsetB+7], s[sgprSrdB:sgprSrdB+3], 0, offen offset:0 // G -> Reg 0_0_7_0
_buffer_load_b64 v[vgprG2LA1+0:vgprG2LA1+0+1], v[vgprGlobalReadOffsetA+0], s[sgprSrdA:sgprSrdA+3], 0, offen offset:0 // G -> Reg 0_0_0_0
v_mfma_f32_16x16x16_f16 a[112+0:115+0], v[vgprValuB_X0_I0+14+0+0:vgprValuB_X0_I0+14+0+0+1], v[vgprValuA_X0_I0+0+0+0:vgprValuA_X0_I0+0+0+0+1], a[112:115]
/* numPrefetchIter=0 */
/* dataAtIterA=-1 numReadsIterA=1 skipReadsIterA=1 readsPerIterA=1 */
/* dataAtIterB=-1 numReadsIterB=1 skipReadsIterB=1 readsPerIterB=8 */


/* iter 1 */

s_waitcnt vmcnt(17)                                // lgkmcnt=-1 vmcnt=17global read wait for DirectToVgpr

/*  grEndMfmaIndex:108, lwStartMfmaIndex:108, lwEndMfmaIndex:108  */
/*  numMfmaForLR:13, barrierMfmaIndex:114 */
/*  mfmaIndex:32  */
/* localReadsVacancy: latencyLeft 2 */
s_waitcnt lgkmcnt(15)                              // lgkmcnt=0 vmcnt=-1wait for prior local read local write old=8, new=8 newLW=0 newLR=0
/* pack scheduling: packAIdx:2, packBIdx:2 */
v_perm_b32 v[vgprValuA_X1_I0+0], v[vgprValuA_X1_I0_D1+0], v[vgprValuA_X1_I0_D0+0], s[sgprPackKForV0] // select K=01 for vector=0
v_perm_b32 v[vgprValuA_X1_I0+1], v[vgprValuA_X1_I0_D3+0], v[vgprValuA_X1_I0_D2+0], s[sgprPackKForV0] // select K=23 for vector=0
v_perm_b32 v[vgprValuB_X1_I0+0], v[vgprValuB_X1_I0_D1+0], v[vgprValuB_X1_I0_D0+0], s[sgprPackKForV0] // select K=01 for vector=0
v_perm_b32 v[vgprValuB_X1_I0+1], v[vgprValuB_X1_I0_D3+0], v[vgprValuB_X1_I0_D2+0], s[sgprPackKForV0] // select K=23 for vector=0
v_perm_b32 v[vgprValuA_X1_I0+2], v[vgprValuA_X1_I0_D1+0], v[vgprValuA_X1_I0_D0+0], s[sgprPackKForV1] // select K=01 for vector=1
v_perm_b32 v[vgprValuA_X1_I0+3], v[vgprValuA_X1_I0_D3+0], v[vgprValuA_X1_I0_D2+0], s[sgprPackKForV1] // select K=23 for vector=1
v_mfma_f32_16x16x16_f16 a[0+0:3+0], v[vgprValuB_X1_I0+0+0+0:vgprValuB_X1_I0+0+0+0+1], v[vgprValuA_X1_I0+0+0+0:vgprValuA_X1_I0+0+0+0+1], a[0:3]
/*  mfmaIndex:33  */
/* localReadsVacancy: latencyLeft 2 */
/* pack scheduling: packAIdx:4, packBIdx:2 */
v_perm_b32 v[vgprValuA_X1_I0+4], v[vgprValuA_X1_I0_D1+1], v[vgprValuA_X1_I0_D0+1], s[sgprPackKForV0] // select K=01 for vector=0
v_perm_b32 v[vgprValuA_X1_I0+5], v[vgprValuA_X1_I0_D3+1], v[vgprValuA_X1_I0_D2+1], s[sgprPackKForV0] // select K=23 for vector=0
v_mfma_f32_16x16x16_f16 a[4+0:7+0], v[vgprValuB_X1_I0+0+0+0:vgprValuB_X1_I0+0+0+0+1], v[vgprValuA_X1_I0+2+0+0:vgprValuA_X1_I0+2+0+0+1], a[4:7]
/*  mfmaIndex:34  */
/* localReadsVacancy: latencyLeft 2 */
_buffer_load_b64 v[vgprG2LA1+2:vgprG2LA1+2+1], v[vgprGlobalReadOffsetA+1], s[sgprSrdA:sgprSrdA+3], 0, offen offset:0 // G -> Reg 0_0_1_0
/* pack scheduling: packAIdx:6, packBIdx:2 */
v_perm_b32 v[vgprValuA_X1_I0+6], v[vgprValuA_X1_I0_D1+1], v[vgprValuA_X1_I0_D0+1], s[sgprPackKForV1] // select K=01 for vector=1
v_perm_b32 v[vgprValuA_X1_I0+7], v[vgprValuA_X1_I0_D3+1], v[vgprValuA_X1_I0_D2+1], s[sgprPackKForV1] // select K=23 for vector=1
v_mfma_f32_16x16x16_f16 a[8+0:11+0], v[vgprValuB_X1_I0+0+0+0:vgprValuB_X1_I0+0+0+0+1], v[vgprValuA_X1_I0+4+0+0:vgprValuA_X1_I0+4+0+0+1], a[8:11]
/*  mfmaIndex:35  */
/* localReadsVacancy: latencyLeft 2 */
/* pack scheduling: packAIdx:8, packBIdx:2 */
v_perm_b32 v[vgprValuB_X1_I0+2], v[vgprValuB_X1_I0_D1+0], v[vgprValuB_X1_I0_D0+0], s[sgprPackKForV1] // select K=01 for vector=1
v_perm_b32 v[vgprValuB_X1_I0+3], v[vgprValuB_X1_I0_D3+0], v[vgprValuB_X1_I0_D2+0], s[sgprPackKForV1] // select K=23 for vector=1
v_mfma_f32_16x16x16_f16 a[12+0:15+0], v[vgprValuB_X1_I0+0+0+0:vgprValuB_X1_I0+0+0+0+1], v[vgprValuA_X1_I0+6+0+0:vgprValuA_X1_I0+6+0+0+1], a[12:15]
/*  mfmaIndex:36  */
/* localReadsVacancy: latencyLeft 2 */
/* pack scheduling: packAIdx:8, packBIdx:4 */
v_perm_b32 v[vgprValuB_X1_I0+4], v[vgprValuB_X1_I0_D1+1], v[vgprValuB_X1_I0_D0+1], s[sgprPackKForV0] // select K=01 for vector=0
v_perm_b32 v[vgprValuB_X1_I0+5], v[vgprValuB_X1_I0_D3+1], v[vgprValuB_X1_I0_D2+1], s[sgprPackKForV0] // select K=23 for vector=0
v_mfma_f32_16x16x16_f16 a[28+0:31+0], v[vgprValuB_X1_I0+2+0+0:vgprValuB_X1_I0+2+0+0+1], v[vgprValuA_X1_I0+6+0+0:vgprValuA_X1_I0+6+0+0+1], a[28:31]
/*  mfmaIndex:37  */
/* localReadsVacancy: latencyLeft 2 */
/* pack scheduling: packAIdx:8, packBIdx:4 */
v_perm_b32 v[vgprValuB_X1_I0+6], v[vgprValuB_X1_I0_D1+1], v[vgprValuB_X1_I0_D0+1], s[sgprPackKForV1] // select K=01 for vector=1
v_perm_b32 v[vgprValuB_X1_I0+7], v[vgprValuB_X1_I0_D3+1], v[vgprValuB_X1_I0_D2+1], s[sgprPackKForV1] // select K=23 for vector=1
v_mfma_f32_16x16x16_f16 a[24+0:27+0], v[vgprValuB_X1_I0+2+0+0:vgprValuB_X1_I0+2+0+0+1], v[vgprValuA_X1_I0+4+0+0:vgprValuA_X1_I0+4+0+0+1], a[24:27]
/*  mfmaIndex:38  */
/* localReadsVacancy: latencyLeft 2 */
/* pack scheduling: packAIdx:8, packBIdx:4 */
v_perm_b32 v[vgprValuB_X1_I0+8], v[vgprValuB_X1_I0_D1+2], v[vgprValuB_X1_I0_D0+2], s[sgprPackKForV0] // select K=01 for vector=0
v_perm_b32 v[vgprValuB_X1_I0+9], v[vgprValuB_X1_I0_D3+2], v[vgprValuB_X1_I0_D2+2], s[sgprPackKForV0] // select K=23 for vector=0
v_mfma_f32_16x16x16_f16 a[20+0:23+0], v[vgprValuB_X1_I0+2+0+0:vgprValuB_X1_I0+2+0+0+1], v[vgprValuA_X1_I0+2+0+0:vgprValuA_X1_I0+2+0+0+1], a[20:23]
/*  mfmaIndex:39  */
/* localReadsVacancy: latencyLeft 2 */
_buffer_load_b64 v[vgprG2LA1+4:vgprG2LA1+4+1], v[vgprGlobalReadOffsetA+2], s[sgprSrdA:sgprSrdA+3], 0, offen offset:0 // G -> Reg 0_0_2_0
/* pack scheduling: packAIdx:8, packBIdx:4 */
v_perm_b32 v[vgprValuB_X1_I0+10], v[vgprValuB_X1_I0_D1+2], v[vgprValuB_X1_I0_D0+2], s[sgprPackKForV1] // select K=01 for vector=1
v_perm_b32 v[vgprValuB_X1_I0+11], v[vgprValuB_X1_I0_D3+2], v[vgprValuB_X1_I0_D2+2], s[sgprPackKForV1] // select K=23 for vector=1
v_mfma_f32_16x16x16_f16 a[16+0:19+0], v[vgprValuB_X1_I0+2+0+0:vgprValuB_X1_I0+2+0+0+1], v[vgprValuA_X1_I0+0+0+0:vgprValuA_X1_I0+0+0+0+1], a[16:19]
/*  mfmaIndex:40  */
/* localReadsVacancy: latencyLeft 2 */
/* pack scheduling: packAIdx:8, packBIdx:6 */
v_perm_b32 v[vgprValuB_X1_I0+12], v[vgprValuB_X1_I0_D1+3], v[vgprValuB_X1_I0_D0+3], s[sgprPackKForV0] // select K=01 for vector=0
v_perm_b32 v[vgprValuB_X1_I0+13], v[vgprValuB_X1_I0_D3+3], v[vgprValuB_X1_I0_D2+3], s[sgprPackKForV0] // select K=23 for vector=0
v_mfma_f32_16x16x16_f16 a[32+0:35+0], v[vgprValuB_X1_I0+4+0+0:vgprValuB_X1_I0+4+0+0+1], v[vgprValuA_X1_I0+0+0+0:vgprValuA_X1_I0+0+0+0+1], a[32:35]
/*  mfmaIndex:41  */
/* localReadsVacancy: latencyLeft 2 */
/* pack scheduling: packAIdx:8, packBIdx:6 */
v_perm_b32 v[vgprValuB_X1_I0+14], v[vgprValuB_X1_I0_D1+3], v[vgprValuB_X1_I0_D0+3], s[sgprPackKForV1] // select K=01 for vector=1
v_perm_b32 v[vgprValuB_X1_I0+15], v[vgprValuB_X1_I0_D3+3], v[vgprValuB_X1_I0_D2+3], s[sgprPackKForV1] // select K=23 for vector=1
v_mfma_f32_16x16x16_f16 a[36+0:39+0], v[vgprValuB_X1_I0+4+0+0:vgprValuB_X1_I0+4+0+0+1], v[vgprValuA_X1_I0+2+0+0:vgprValuA_X1_I0+2+0+0+1], a[36:39]
/*  mfmaIndex:42  */
/* localReadsVacancy: latencyLeft 2 */
v_mfma_f32_16x16x16_f16 a[40+0:43+0], v[vgprValuB_X1_I0+4+0+0:vgprValuB_X1_I0+4+0+0+1], v[vgprValuA_X1_I0+4+0+0:vgprValuA_X1_I0+4+0+0+1], a[40:43]
/*  mfmaIndex:43  */
/* localReadsVacancy: latencyLeft 2 */
	;; [unrolled: 3-line block ×3, first 2 shown]
_buffer_load_b64 v[vgprG2LA1+6:vgprG2LA1+6+1], v[vgprGlobalReadOffsetA+3], s[sgprSrdA:sgprSrdA+3], 0, offen offset:0 // G -> Reg 0_0_3_0
v_mfma_f32_16x16x16_f16 a[60+0:63+0], v[vgprValuB_X1_I0+6+0+0:vgprValuB_X1_I0+6+0+0+1], v[vgprValuA_X1_I0+6+0+0:vgprValuA_X1_I0+6+0+0+1], a[60:63]
/*  mfmaIndex:45  */
/* localReadsVacancy: latencyLeft 2 */
v_mfma_f32_16x16x16_f16 a[56+0:59+0], v[vgprValuB_X1_I0+6+0+0:vgprValuB_X1_I0+6+0+0+1], v[vgprValuA_X1_I0+4+0+0:vgprValuA_X1_I0+4+0+0+1], a[56:59]
/*  mfmaIndex:46  */
/* localReadsVacancy: latencyLeft 2 */
	;; [unrolled: 3-line block ×5, first 2 shown]
_buffer_load_b64 v[vgprG2LA1+8:vgprG2LA1+8+1], v[vgprGlobalReadOffsetA+4], s[sgprSrdA:sgprSrdA+3], 0, offen offset:0 // G -> Reg 0_0_4_0
v_mfma_f32_16x16x16_f16 a[68+0:71+0], v[vgprValuB_X1_I0+8+0+0:vgprValuB_X1_I0+8+0+0+1], v[vgprValuA_X1_I0+2+0+0:vgprValuA_X1_I0+2+0+0+1], a[68:71]
/*  mfmaIndex:50  */
/* localReadsVacancy: latencyLeft 2 */
v_mfma_f32_16x16x16_f16 a[72+0:75+0], v[vgprValuB_X1_I0+8+0+0:vgprValuB_X1_I0+8+0+0+1], v[vgprValuA_X1_I0+4+0+0:vgprValuA_X1_I0+4+0+0+1], a[72:75]
/*  mfmaIndex:51  */
/* localReadsVacancy: latencyLeft 2 */
	;; [unrolled: 3-line block ×5, first 2 shown]
_buffer_load_b64 v[vgprG2LA1+10:vgprG2LA1+10+1], v[vgprGlobalReadOffsetA+5], s[sgprSrdA:sgprSrdA+3], 0, offen offset:0 // G -> Reg 0_0_5_0
v_mfma_f32_16x16x16_f16 a[84+0:87+0], v[vgprValuB_X1_I0+10+0+0:vgprValuB_X1_I0+10+0+0+1], v[vgprValuA_X1_I0+2+0+0:vgprValuA_X1_I0+2+0+0+1], a[84:87]
/*  mfmaIndex:55  */
/* localReadsVacancy: latencyLeft 2 */
v_mfma_f32_16x16x16_f16 a[80+0:83+0], v[vgprValuB_X1_I0+10+0+0:vgprValuB_X1_I0+10+0+0+1], v[vgprValuA_X1_I0+0+0+0:vgprValuA_X1_I0+0+0+0+1], a[80:83]
/*  mfmaIndex:56  */
/* localReadsVacancy: latencyLeft 2 */
	;; [unrolled: 3-line block ×5, first 2 shown]
_buffer_load_b64 v[vgprG2LA1+12:vgprG2LA1+12+1], v[vgprGlobalReadOffsetA+6], s[sgprSrdA:sgprSrdA+3], 0, offen offset:0 // G -> Reg 0_0_6_0
v_mfma_f32_16x16x16_f16 a[108+0:111+0], v[vgprValuB_X1_I0+12+0+0:vgprValuB_X1_I0+12+0+0+1], v[vgprValuA_X1_I0+6+0+0:vgprValuA_X1_I0+6+0+0+1], a[108:111]
/*  mfmaIndex:60  */
/* localReadsVacancy: latencyLeft 2 */
v_mfma_f32_16x16x16_f16 a[124+0:127+0], v[vgprValuB_X1_I0+14+0+0:vgprValuB_X1_I0+14+0+0+1], v[vgprValuA_X1_I0+6+0+0:vgprValuA_X1_I0+6+0+0+1], a[124:127]
/*  mfmaIndex:61  */
/* localReadsVacancy: latencyLeft 2 */
	;; [unrolled: 3-line block ×4, first 2 shown]
v_mfma_f32_16x16x16_f16 a[112+0:115+0], v[vgprValuB_X1_I0+14+0+0:vgprValuB_X1_I0+14+0+0+1], v[vgprValuA_X1_I0+0+0+0:vgprValuA_X1_I0+0+0+0+1], a[112:115]
/* numPrefetchIter=0 */
/* dataAtIterA=0 numReadsIterA=2 skipReadsIterA=1 readsPerIterA=1 */
/* dataAtIterB=0 numReadsIterB=2 skipReadsIterB=1 readsPerIterB=8 */


/* iter 2 (reset local read pointers iteration)  (swap local read pointers iteration)  */

s_waitcnt vmcnt(19)                                // lgkmcnt=-1 vmcnt=19global read wait for DirectToVgpr

/*  grEndMfmaIndex:108, lwStartMfmaIndex:108, lwEndMfmaIndex:108  */
/*  numMfmaForLR:13, barrierMfmaIndex:114 */
/*  mfmaIndex:64  */
/* localReadsVacancy: latencyLeft 2 */
_buffer_load_b64 v[vgprG2LA1+14:vgprG2LA1+14+1], v[vgprGlobalReadOffsetA+7], s[sgprSrdA:sgprSrdA+3], 0, offen offset:0 // G -> Reg 0_0_7_0
s_waitcnt lgkmcnt(0)                               // lgkmcnt=0 vmcnt=-1wait for prior local read local write old=0, new=0 newLW=0 newLR=0
/* pack scheduling: packAIdx:2, packBIdx:2 */
v_perm_b32 v[vgprValuA_X2_I0+0], v[vgprValuA_X2_I0_D1+0], v[vgprValuA_X2_I0_D0+0], s[sgprPackKForV0] // select K=01 for vector=0
v_perm_b32 v[vgprValuA_X2_I0+1], v[vgprValuA_X2_I0_D3+0], v[vgprValuA_X2_I0_D2+0], s[sgprPackKForV0] // select K=23 for vector=0
v_perm_b32 v[vgprValuB_X2_I0+0], v[vgprValuB_X2_I0_D1+0], v[vgprValuB_X2_I0_D0+0], s[sgprPackKForV0] // select K=01 for vector=0
v_perm_b32 v[vgprValuB_X2_I0+1], v[vgprValuB_X2_I0_D3+0], v[vgprValuB_X2_I0_D2+0], s[sgprPackKForV0] // select K=23 for vector=0
v_perm_b32 v[vgprValuA_X2_I0+2], v[vgprValuA_X2_I0_D1+0], v[vgprValuA_X2_I0_D0+0], s[sgprPackKForV1] // select K=01 for vector=1
v_perm_b32 v[vgprValuA_X2_I0+3], v[vgprValuA_X2_I0_D3+0], v[vgprValuA_X2_I0_D2+0], s[sgprPackKForV1] // select K=23 for vector=1
v_mfma_f32_16x16x16_f16 a[0+0:3+0], v[vgprValuB_X2_I0+0+0+0:vgprValuB_X2_I0+0+0+0+1], v[vgprValuA_X2_I0+0+0+0:vgprValuA_X2_I0+0+0+0+1], a[0:3]
/*  mfmaIndex:65  */
/* localReadsVacancy: latencyLeft 2 */
/* pack scheduling: packAIdx:4, packBIdx:2 */
v_perm_b32 v[vgprValuA_X2_I0+4], v[vgprValuA_X2_I0_D1+1], v[vgprValuA_X2_I0_D0+1], s[sgprPackKForV0] // select K=01 for vector=0
v_perm_b32 v[vgprValuA_X2_I0+5], v[vgprValuA_X2_I0_D3+1], v[vgprValuA_X2_I0_D2+1], s[sgprPackKForV0] // select K=23 for vector=0
v_mfma_f32_16x16x16_f16 a[4+0:7+0], v[vgprValuB_X2_I0+0+0+0:vgprValuB_X2_I0+0+0+0+1], v[vgprValuA_X2_I0+2+0+0:vgprValuA_X2_I0+2+0+0+1], a[4:7]
/*  mfmaIndex:66  */
/* localReadsVacancy: latencyLeft 2 */
/* pack scheduling: packAIdx:6, packBIdx:2 */
v_perm_b32 v[vgprValuA_X2_I0+6], v[vgprValuA_X2_I0_D1+1], v[vgprValuA_X2_I0_D0+1], s[sgprPackKForV1] // select K=01 for vector=1
v_perm_b32 v[vgprValuA_X2_I0+7], v[vgprValuA_X2_I0_D3+1], v[vgprValuA_X2_I0_D2+1], s[sgprPackKForV1] // select K=23 for vector=1
v_mfma_f32_16x16x16_f16 a[8+0:11+0], v[vgprValuB_X2_I0+0+0+0:vgprValuB_X2_I0+0+0+0+1], v[vgprValuA_X2_I0+4+0+0:vgprValuA_X2_I0+4+0+0+1], a[8:11]
/*  mfmaIndex:67  */
/* localReadsVacancy: latencyLeft 2 */
/* pack scheduling: packAIdx:8, packBIdx:2 */
v_perm_b32 v[vgprValuB_X2_I0+2], v[vgprValuB_X2_I0_D1+0], v[vgprValuB_X2_I0_D0+0], s[sgprPackKForV1] // select K=01 for vector=1
v_perm_b32 v[vgprValuB_X2_I0+3], v[vgprValuB_X2_I0_D3+0], v[vgprValuB_X2_I0_D2+0], s[sgprPackKForV1] // select K=23 for vector=1
v_mfma_f32_16x16x16_f16 a[12+0:15+0], v[vgprValuB_X2_I0+0+0+0:vgprValuB_X2_I0+0+0+0+1], v[vgprValuA_X2_I0+6+0+0:vgprValuA_X2_I0+6+0+0+1], a[12:15]
/*  mfmaIndex:68  */
/* localReadsVacancy: latencyLeft 2 */
/* pack scheduling: packAIdx:8, packBIdx:4 */
v_perm_b32 v[vgprValuB_X2_I0+4], v[vgprValuB_X2_I0_D1+1], v[vgprValuB_X2_I0_D0+1], s[sgprPackKForV0] // select K=01 for vector=0
v_perm_b32 v[vgprValuB_X2_I0+5], v[vgprValuB_X2_I0_D3+1], v[vgprValuB_X2_I0_D2+1], s[sgprPackKForV0] // select K=23 for vector=0
v_mfma_f32_16x16x16_f16 a[28+0:31+0], v[vgprValuB_X2_I0+2+0+0:vgprValuB_X2_I0+2+0+0+1], v[vgprValuA_X2_I0+6+0+0:vgprValuA_X2_I0+6+0+0+1], a[28:31]
/*  mfmaIndex:69  */
/* localReadsVacancy: latencyLeft 2 */
_buffer_load_b64 v[vgprG2LA1+16:vgprG2LA1+16+1], v[vgprGlobalReadOffsetA+8], s[sgprSrdA:sgprSrdA+3], 0, offen offset:0 // G -> Reg 0_0_8_0
/* pack scheduling: packAIdx:8, packBIdx:4 */
v_perm_b32 v[vgprValuB_X2_I0+6], v[vgprValuB_X2_I0_D1+1], v[vgprValuB_X2_I0_D0+1], s[sgprPackKForV1] // select K=01 for vector=1
v_perm_b32 v[vgprValuB_X2_I0+7], v[vgprValuB_X2_I0_D3+1], v[vgprValuB_X2_I0_D2+1], s[sgprPackKForV1] // select K=23 for vector=1
v_mfma_f32_16x16x16_f16 a[24+0:27+0], v[vgprValuB_X2_I0+2+0+0:vgprValuB_X2_I0+2+0+0+1], v[vgprValuA_X2_I0+4+0+0:vgprValuA_X2_I0+4+0+0+1], a[24:27]
/*  mfmaIndex:70  */
/* localReadsVacancy: latencyLeft 2 */
/* pack scheduling: packAIdx:8, packBIdx:4 */
v_perm_b32 v[vgprValuB_X2_I0+8], v[vgprValuB_X2_I0_D1+2], v[vgprValuB_X2_I0_D0+2], s[sgprPackKForV0] // select K=01 for vector=0
v_perm_b32 v[vgprValuB_X2_I0+9], v[vgprValuB_X2_I0_D3+2], v[vgprValuB_X2_I0_D2+2], s[sgprPackKForV0] // select K=23 for vector=0
v_mfma_f32_16x16x16_f16 a[20+0:23+0], v[vgprValuB_X2_I0+2+0+0:vgprValuB_X2_I0+2+0+0+1], v[vgprValuA_X2_I0+2+0+0:vgprValuA_X2_I0+2+0+0+1], a[20:23]
/*  mfmaIndex:71  */
/* localReadsVacancy: latencyLeft 2 */
/* pack scheduling: packAIdx:8, packBIdx:4 */
v_perm_b32 v[vgprValuB_X2_I0+10], v[vgprValuB_X2_I0_D1+2], v[vgprValuB_X2_I0_D0+2], s[sgprPackKForV1] // select K=01 for vector=1
v_perm_b32 v[vgprValuB_X2_I0+11], v[vgprValuB_X2_I0_D3+2], v[vgprValuB_X2_I0_D2+2], s[sgprPackKForV1] // select K=23 for vector=1
v_mfma_f32_16x16x16_f16 a[16+0:19+0], v[vgprValuB_X2_I0+2+0+0:vgprValuB_X2_I0+2+0+0+1], v[vgprValuA_X2_I0+0+0+0:vgprValuA_X2_I0+0+0+0+1], a[16:19]
/*  mfmaIndex:72  */
/* localReadsVacancy: latencyLeft 2 */
/* pack scheduling: packAIdx:8, packBIdx:6 */
v_perm_b32 v[vgprValuB_X2_I0+12], v[vgprValuB_X2_I0_D1+3], v[vgprValuB_X2_I0_D0+3], s[sgprPackKForV0] // select K=01 for vector=0
v_perm_b32 v[vgprValuB_X2_I0+13], v[vgprValuB_X2_I0_D3+3], v[vgprValuB_X2_I0_D2+3], s[sgprPackKForV0] // select K=23 for vector=0
v_mfma_f32_16x16x16_f16 a[32+0:35+0], v[vgprValuB_X2_I0+4+0+0:vgprValuB_X2_I0+4+0+0+1], v[vgprValuA_X2_I0+0+0+0:vgprValuA_X2_I0+0+0+0+1], a[32:35]
/*  mfmaIndex:73  */
/* localReadsVacancy: latencyLeft 2 */
/* pack scheduling: packAIdx:8, packBIdx:6 */
v_perm_b32 v[vgprValuB_X2_I0+14], v[vgprValuB_X2_I0_D1+3], v[vgprValuB_X2_I0_D0+3], s[sgprPackKForV1] // select K=01 for vector=1
v_perm_b32 v[vgprValuB_X2_I0+15], v[vgprValuB_X2_I0_D3+3], v[vgprValuB_X2_I0_D2+3], s[sgprPackKForV1] // select K=23 for vector=1
v_mfma_f32_16x16x16_f16 a[36+0:39+0], v[vgprValuB_X2_I0+4+0+0:vgprValuB_X2_I0+4+0+0+1], v[vgprValuA_X2_I0+2+0+0:vgprValuA_X2_I0+2+0+0+1], a[36:39]
/*  mfmaIndex:74  */
/* localReadsVacancy: latencyLeft 2 */
_buffer_load_b64 v[vgprG2LA1+18:vgprG2LA1+18+1], v[vgprGlobalReadOffsetA+9], s[sgprSrdA:sgprSrdA+3], 0, offen offset:0 // G -> Reg 0_0_9_0
v_mfma_f32_16x16x16_f16 a[40+0:43+0], v[vgprValuB_X2_I0+4+0+0:vgprValuB_X2_I0+4+0+0+1], v[vgprValuA_X2_I0+4+0+0:vgprValuA_X2_I0+4+0+0+1], a[40:43]
/*  mfmaIndex:75  */
/* localReadsVacancy: latencyLeft 2 */
v_mfma_f32_16x16x16_f16 a[44+0:47+0], v[vgprValuB_X2_I0+4+0+0:vgprValuB_X2_I0+4+0+0+1], v[vgprValuA_X2_I0+6+0+0:vgprValuA_X2_I0+6+0+0+1], a[44:47]
/*  mfmaIndex:76  */
/* localReadsVacancy: latencyLeft 2 */
	;; [unrolled: 3-line block ×5, first 2 shown]
_buffer_load_b64 v[vgprG2LA1+20:vgprG2LA1+20+1], v[vgprGlobalReadOffsetA+10], s[sgprSrdA:sgprSrdA+3], 0, offen offset:0 // G -> Reg 0_0_10_0
v_mfma_f32_16x16x16_f16 a[48+0:51+0], v[vgprValuB_X2_I0+6+0+0:vgprValuB_X2_I0+6+0+0+1], v[vgprValuA_X2_I0+0+0+0:vgprValuA_X2_I0+0+0+0+1], a[48:51]
/*  mfmaIndex:80  */
/* localReadsVacancy: latencyLeft 2 */
v_mfma_f32_16x16x16_f16 a[64+0:67+0], v[vgprValuB_X2_I0+8+0+0:vgprValuB_X2_I0+8+0+0+1], v[vgprValuA_X2_I0+0+0+0:vgprValuA_X2_I0+0+0+0+1], a[64:67]
/*  mfmaIndex:81  */
/* localReadsVacancy: latencyLeft 2 */
	;; [unrolled: 3-line block ×5, first 2 shown]
_buffer_load_b64 v[vgprG2LA1+22:vgprG2LA1+22+1], v[vgprGlobalReadOffsetA+11], s[sgprSrdA:sgprSrdA+3], 0, offen offset:0 // G -> Reg 0_0_11_0
v_mfma_f32_16x16x16_f16 a[92+0:95+0], v[vgprValuB_X2_I0+10+0+0:vgprValuB_X2_I0+10+0+0+1], v[vgprValuA_X2_I0+6+0+0:vgprValuA_X2_I0+6+0+0+1], a[92:95]
/*  mfmaIndex:85  */
/* localReadsVacancy: latencyLeft 2 */
v_mfma_f32_16x16x16_f16 a[88+0:91+0], v[vgprValuB_X2_I0+10+0+0:vgprValuB_X2_I0+10+0+0+1], v[vgprValuA_X2_I0+4+0+0:vgprValuA_X2_I0+4+0+0+1], a[88:91]
/*  mfmaIndex:86  */
/* localReadsVacancy: latencyLeft 2 */
v_mfma_f32_16x16x16_f16 a[84+0:87+0], v[vgprValuB_X2_I0+10+0+0:vgprValuB_X2_I0+10+0+0+1], v[vgprValuA_X2_I0+2+0+0:vgprValuA_X2_I0+2+0+0+1], a[84:87]
/*  mfmaIndex:87  */
/* localReadsVacancy: latencyLeft 2 */
v_mfma_f32_16x16x16_f16 a[80+0:83+0], v[vgprValuB_X2_I0+10+0+0:vgprValuB_X2_I0+10+0+0+1], v[vgprValuA_X2_I0+0+0+0:vgprValuA_X2_I0+0+0+0+1], a[80:83]
/*  mfmaIndex:88  */
/* localReadsVacancy: latencyLeft 2 */
v_mfma_f32_16x16x16_f16 a[96+0:99+0], v[vgprValuB_X2_I0+12+0+0:vgprValuB_X2_I0+12+0+0+1], v[vgprValuA_X2_I0+0+0+0:vgprValuA_X2_I0+0+0+0+1], a[96:99]
/*  mfmaIndex:89  */
/* localReadsVacancy: latencyLeft 2 */
_buffer_load_b64 v[vgprG2LA1+24:vgprG2LA1+24+1], v[vgprGlobalReadOffsetA+12], s[sgprSrdA:sgprSrdA+3], 0, offen offset:0 // G -> Reg 0_0_12_0
v_mfma_f32_16x16x16_f16 a[100+0:103+0], v[vgprValuB_X2_I0+12+0+0:vgprValuB_X2_I0+12+0+0+1], v[vgprValuA_X2_I0+2+0+0:vgprValuA_X2_I0+2+0+0+1], a[100:103]
/*  mfmaIndex:90  */
/* localReadsVacancy: latencyLeft 2 */
v_mfma_f32_16x16x16_f16 a[104+0:107+0], v[vgprValuB_X2_I0+12+0+0:vgprValuB_X2_I0+12+0+0+1], v[vgprValuA_X2_I0+4+0+0:vgprValuA_X2_I0+4+0+0+1], a[104:107]
/*  mfmaIndex:91  */
/* localReadsVacancy: latencyLeft 2 */
	;; [unrolled: 3-line block ×5, first 2 shown]
_buffer_load_b64 v[vgprG2LA1+26:vgprG2LA1+26+1], v[vgprGlobalReadOffsetA+13], s[sgprSrdA:sgprSrdA+3], 0, offen offset:0 // G -> Reg 0_0_13_0
v_mfma_f32_16x16x16_f16 a[116+0:119+0], v[vgprValuB_X2_I0+14+0+0:vgprValuB_X2_I0+14+0+0+1], v[vgprValuA_X2_I0+2+0+0:vgprValuA_X2_I0+2+0+0+1], a[116:119]
/*  mfmaIndex:95  */
/* localReadsVacancy: latencyLeft 2 */

/* local read swap offsets a */

/* local read swap offsets b */

/* local read init pointers a */

/* local read init pointers b */

/* localReadInitPointers */
v_mfma_f32_16x16x16_f16 a[112+0:115+0], v[vgprValuB_X2_I0+14+0+0:vgprValuB_X2_I0+14+0+0+1], v[vgprValuA_X2_I0+0+0+0:vgprValuA_X2_I0+0+0+0+1], a[112:115]
/* numPrefetchIter=0 */
/* dataAtIterA=1 numReadsIterA=3 skipReadsIterA=1 readsPerIterA=1 */
/* dataAtIterB=1 numReadsIterB=3 skipReadsIterB=1 readsPerIterB=8 */


/* iter 3 (swap and reset local write pointers iteration)  */

s_waitcnt vmcnt(22)                                // lgkmcnt=-1 vmcnt=22global read wait for DirectToVgpr

/*  grEndMfmaIndex:108, lwStartMfmaIndex:108, lwEndMfmaIndex:108  */
/*  numMfmaForLR:13, barrierMfmaIndex:114 */
/*  mfmaIndex:96  */
s_waitcnt lgkmcnt(0)                               // lgkmcnt=0 vmcnt=-1wait for prior local read local write old=0, new=0 newLW=0 newLR=0
/* pack scheduling: packAIdx:2, packBIdx:2 */
v_perm_b32 v[vgprValuA_X3_I0+0], v[vgprValuA_X3_I0_D1+0], v[vgprValuA_X3_I0_D0+0], s[sgprPackKForV0] // select K=01 for vector=0
v_perm_b32 v[vgprValuA_X3_I0+1], v[vgprValuA_X3_I0_D3+0], v[vgprValuA_X3_I0_D2+0], s[sgprPackKForV0] // select K=23 for vector=0
v_perm_b32 v[vgprValuB_X3_I0+0], v[vgprValuB_X3_I0_D1+0], v[vgprValuB_X3_I0_D0+0], s[sgprPackKForV0] // select K=01 for vector=0
v_perm_b32 v[vgprValuB_X3_I0+1], v[vgprValuB_X3_I0_D3+0], v[vgprValuB_X3_I0_D2+0], s[sgprPackKForV0] // select K=23 for vector=0
v_perm_b32 v[vgprValuA_X3_I0+2], v[vgprValuA_X3_I0_D1+0], v[vgprValuA_X3_I0_D0+0], s[sgprPackKForV1] // select K=01 for vector=1
v_perm_b32 v[vgprValuA_X3_I0+3], v[vgprValuA_X3_I0_D3+0], v[vgprValuA_X3_I0_D2+0], s[sgprPackKForV1] // select K=23 for vector=1
v_mfma_f32_16x16x16_f16 a[0+0:3+0], v[vgprValuB_X3_I0+0+0+0:vgprValuB_X3_I0+0+0+0+1], v[vgprValuA_X3_I0+0+0+0:vgprValuA_X3_I0+0+0+0+1], a[0:3]
/*  mfmaIndex:97  */
/* pack scheduling: packAIdx:4, packBIdx:2 */
v_perm_b32 v[vgprValuA_X3_I0+4], v[vgprValuA_X3_I0_D1+1], v[vgprValuA_X3_I0_D0+1], s[sgprPackKForV0] // select K=01 for vector=0
v_perm_b32 v[vgprValuA_X3_I0+5], v[vgprValuA_X3_I0_D3+1], v[vgprValuA_X3_I0_D2+1], s[sgprPackKForV0] // select K=23 for vector=0
v_mfma_f32_16x16x16_f16 a[4+0:7+0], v[vgprValuB_X3_I0+0+0+0:vgprValuB_X3_I0+0+0+0+1], v[vgprValuA_X3_I0+2+0+0:vgprValuA_X3_I0+2+0+0+1], a[4:7]
/*  mfmaIndex:98  */
/* pack scheduling: packAIdx:6, packBIdx:2 */
v_perm_b32 v[vgprValuA_X3_I0+6], v[vgprValuA_X3_I0_D1+1], v[vgprValuA_X3_I0_D0+1], s[sgprPackKForV1] // select K=01 for vector=1
v_perm_b32 v[vgprValuA_X3_I0+7], v[vgprValuA_X3_I0_D3+1], v[vgprValuA_X3_I0_D2+1], s[sgprPackKForV1] // select K=23 for vector=1
v_mfma_f32_16x16x16_f16 a[8+0:11+0], v[vgprValuB_X3_I0+0+0+0:vgprValuB_X3_I0+0+0+0+1], v[vgprValuA_X3_I0+4+0+0:vgprValuA_X3_I0+4+0+0+1], a[8:11]
/*  mfmaIndex:99  */
_buffer_load_b64 v[vgprG2LA1+28:vgprG2LA1+28+1], v[vgprGlobalReadOffsetA+14], s[sgprSrdA:sgprSrdA+3], 0, offen offset:0 // G -> Reg 0_0_14_0
/* pack scheduling: packAIdx:8, packBIdx:2 */
v_perm_b32 v[vgprValuB_X3_I0+2], v[vgprValuB_X3_I0_D1+0], v[vgprValuB_X3_I0_D0+0], s[sgprPackKForV1] // select K=01 for vector=1
v_perm_b32 v[vgprValuB_X3_I0+3], v[vgprValuB_X3_I0_D3+0], v[vgprValuB_X3_I0_D2+0], s[sgprPackKForV1] // select K=23 for vector=1
v_mfma_f32_16x16x16_f16 a[12+0:15+0], v[vgprValuB_X3_I0+0+0+0:vgprValuB_X3_I0+0+0+0+1], v[vgprValuA_X3_I0+6+0+0:vgprValuA_X3_I0+6+0+0+1], a[12:15]
/*  mfmaIndex:100  */
/* pack scheduling: packAIdx:8, packBIdx:4 */
v_perm_b32 v[vgprValuB_X3_I0+4], v[vgprValuB_X3_I0_D1+1], v[vgprValuB_X3_I0_D0+1], s[sgprPackKForV0] // select K=01 for vector=0
v_perm_b32 v[vgprValuB_X3_I0+5], v[vgprValuB_X3_I0_D3+1], v[vgprValuB_X3_I0_D2+1], s[sgprPackKForV0] // select K=23 for vector=0
v_mfma_f32_16x16x16_f16 a[28+0:31+0], v[vgprValuB_X3_I0+2+0+0:vgprValuB_X3_I0+2+0+0+1], v[vgprValuA_X3_I0+6+0+0:vgprValuA_X3_I0+6+0+0+1], a[28:31]
/*  mfmaIndex:101  */
/* pack scheduling: packAIdx:8, packBIdx:4 */
v_perm_b32 v[vgprValuB_X3_I0+6], v[vgprValuB_X3_I0_D1+1], v[vgprValuB_X3_I0_D0+1], s[sgprPackKForV1] // select K=01 for vector=1
v_perm_b32 v[vgprValuB_X3_I0+7], v[vgprValuB_X3_I0_D3+1], v[vgprValuB_X3_I0_D2+1], s[sgprPackKForV1] // select K=23 for vector=1
v_mfma_f32_16x16x16_f16 a[24+0:27+0], v[vgprValuB_X3_I0+2+0+0:vgprValuB_X3_I0+2+0+0+1], v[vgprValuA_X3_I0+4+0+0:vgprValuA_X3_I0+4+0+0+1], a[24:27]
/*  mfmaIndex:102  */
/* pack scheduling: packAIdx:8, packBIdx:4 */
v_perm_b32 v[vgprValuB_X3_I0+8], v[vgprValuB_X3_I0_D1+2], v[vgprValuB_X3_I0_D0+2], s[sgprPackKForV0] // select K=01 for vector=0
v_perm_b32 v[vgprValuB_X3_I0+9], v[vgprValuB_X3_I0_D3+2], v[vgprValuB_X3_I0_D2+2], s[sgprPackKForV0] // select K=23 for vector=0
v_mfma_f32_16x16x16_f16 a[20+0:23+0], v[vgprValuB_X3_I0+2+0+0:vgprValuB_X3_I0+2+0+0+1], v[vgprValuA_X3_I0+2+0+0:vgprValuA_X3_I0+2+0+0+1], a[20:23]
/*  mfmaIndex:103  */
/* pack scheduling: packAIdx:8, packBIdx:4 */
v_perm_b32 v[vgprValuB_X3_I0+10], v[vgprValuB_X3_I0_D1+2], v[vgprValuB_X3_I0_D0+2], s[sgprPackKForV1] // select K=01 for vector=1
v_perm_b32 v[vgprValuB_X3_I0+11], v[vgprValuB_X3_I0_D3+2], v[vgprValuB_X3_I0_D2+2], s[sgprPackKForV1] // select K=23 for vector=1
v_mfma_f32_16x16x16_f16 a[16+0:19+0], v[vgprValuB_X3_I0+2+0+0:vgprValuB_X3_I0+2+0+0+1], v[vgprValuA_X3_I0+0+0+0:vgprValuA_X3_I0+0+0+0+1], a[16:19]
/*  mfmaIndex:104  */
_buffer_load_b64 v[vgprG2LA1+30:vgprG2LA1+30+1], v[vgprGlobalReadOffsetA+15], s[sgprSrdA:sgprSrdA+3], 0, offen offset:0 // G -> Reg 0_0_15_0
/* pack scheduling: packAIdx:8, packBIdx:6 */
v_perm_b32 v[vgprValuB_X3_I0+12], v[vgprValuB_X3_I0_D1+3], v[vgprValuB_X3_I0_D0+3], s[sgprPackKForV0] // select K=01 for vector=0
v_perm_b32 v[vgprValuB_X3_I0+13], v[vgprValuB_X3_I0_D3+3], v[vgprValuB_X3_I0_D2+3], s[sgprPackKForV0] // select K=23 for vector=0
v_mfma_f32_16x16x16_f16 a[32+0:35+0], v[vgprValuB_X3_I0+4+0+0:vgprValuB_X3_I0+4+0+0+1], v[vgprValuA_X3_I0+0+0+0:vgprValuA_X3_I0+0+0+0+1], a[32:35]
/*  mfmaIndex:105  */
/* pack scheduling: packAIdx:8, packBIdx:6 */
v_perm_b32 v[vgprValuB_X3_I0+14], v[vgprValuB_X3_I0_D1+3], v[vgprValuB_X3_I0_D0+3], s[sgprPackKForV1] // select K=01 for vector=1
v_perm_b32 v[vgprValuB_X3_I0+15], v[vgprValuB_X3_I0_D3+3], v[vgprValuB_X3_I0_D2+3], s[sgprPackKForV1] // select K=23 for vector=1
v_mfma_f32_16x16x16_f16 a[36+0:39+0], v[vgprValuB_X3_I0+4+0+0:vgprValuB_X3_I0+4+0+0+1], v[vgprValuA_X3_I0+2+0+0:vgprValuA_X3_I0+2+0+0+1], a[36:39]
/*  mfmaIndex:106  */
v_mfma_f32_16x16x16_f16 a[40+0:43+0], v[vgprValuB_X3_I0+4+0+0:vgprValuB_X3_I0+4+0+0+1], v[vgprValuA_X3_I0+4+0+0:vgprValuA_X3_I0+4+0+0+1], a[40:43]
/*  mfmaIndex:107  */
/* 1 LDS buffer: read-sync-write */
s_waitcnt lgkmcnt(0)                               // 
s_barrier                                          // 
v_mfma_f32_16x16x16_f16 a[44+0:47+0], v[vgprValuB_X3_I0+4+0+0:vgprValuB_X3_I0+4+0+0+1], v[vgprValuA_X3_I0+6+0+0:vgprValuA_X3_I0+6+0+0+1], a[44:47]
s_setprio 0                                        // store optimization
/*  mfmaIndex:108  */
/* sched write - iter 3 writesPerItem=1 */
s_waitcnt vmcnt(0)                                 // lgkmcnt=-1 vmcnt=0wait for global read before writing to local
_ds_store_b64 v[vgprLocalWriteAddrB], v[vgprG2LB+0:vgprG2LB+0+1] offset:0 // lwoB_0_0_0_0 = (0*LSCB) + (0*LSPB)(*MT1J+PAD) = 0
/* sched write - iter 3 writesPerItem=1 */
s_waitcnt vmcnt(0)                                 // lgkmcnt=-1 vmcnt=0wait for global read before writing to local
_ds_store_b64 v[vgprLocalWriteAddrB], v[vgprG2LB+2:vgprG2LB+2+1] offset:2048 // lwoB_0_0_1_0 = (0*LSCB) + (1*LSPB)(*MT1J+PAD) = 2048
/* sched write - iter 3 writesPerItem=1 */
s_waitcnt vmcnt(0)                                 // lgkmcnt=-1 vmcnt=0wait for global read before writing to local
_ds_store_b64 v[vgprLocalWriteAddrB], v[vgprG2LB+4:vgprG2LB+4+1] offset:4096 // lwoB_0_0_2_0 = (0*LSCB) + (2*LSPB)(*MT1J+PAD) = 4096
/* sched write - iter 3 writesPerItem=1 */
s_waitcnt vmcnt(0)                                 // lgkmcnt=-1 vmcnt=0wait for global read before writing to local
_ds_store_b64 v[vgprLocalWriteAddrB], v[vgprG2LB+6:vgprG2LB+6+1] offset:6144 // lwoB_0_0_3_0 = (0*LSCB) + (3*LSPB)(*MT1J+PAD) = 6144
/* sched write - iter 3 writesPerItem=1 */
s_waitcnt vmcnt(0)                                 // lgkmcnt=-1 vmcnt=0wait for global read before writing to local
_ds_store_b64 v[vgprLocalWriteAddrB], v[vgprG2LB+8:vgprG2LB+8+1] offset:8192 // lwoB_0_0_4_0 = (0*LSCB) + (4*LSPB)(*MT1J+PAD) = 8192
/* sched write - iter 3 writesPerItem=1 */
s_waitcnt vmcnt(0)                                 // lgkmcnt=-1 vmcnt=0wait for global read before writing to local
_ds_store_b64 v[vgprLocalWriteAddrB], v[vgprG2LB+10:vgprG2LB+10+1] offset:10240 // lwoB_0_0_5_0 = (0*LSCB) + (5*LSPB)(*MT1J+PAD) = 10240
/* sched write - iter 3 writesPerItem=1 */
s_waitcnt vmcnt(0)                                 // lgkmcnt=-1 vmcnt=0wait for global read before writing to local
_ds_store_b64 v[vgprLocalWriteAddrB], v[vgprG2LB+12:vgprG2LB+12+1] offset:12288 // lwoB_0_0_6_0 = (0*LSCB) + (6*LSPB)(*MT1J+PAD) = 12288
/* sched write - iter 3 writesPerItem=1 */
s_waitcnt vmcnt(0)                                 // lgkmcnt=-1 vmcnt=0wait for global read before writing to local
_ds_store_b64 v[vgprLocalWriteAddrB], v[vgprG2LB+14:vgprG2LB+14+1] offset:14336 // lwoB_0_0_7_0 = (0*LSCB) + (7*LSPB)(*MT1J+PAD) = 14336

/* local write swap offsets a */

/* local write swap offsets b */
v_mfma_f32_16x16x16_f16 a[60+0:63+0], v[vgprValuB_X3_I0+6+0+0:vgprValuB_X3_I0+6+0+0+1], v[vgprValuA_X3_I0+6+0+0:vgprValuA_X3_I0+6+0+0+1], a[60:63]
/*  mfmaIndex:109  */

/* global read inc B loopL */
s_add_u32 s[sgprSrdB+0], s[sgprSrdB+0], s[sgprGlobalReadIncsB+0] // gra SRD += inc(lower)
v_mfma_f32_16x16x16_f16 a[56+0:59+0], v[vgprValuB_X3_I0+6+0+0:vgprValuB_X3_I0+6+0+0+1], v[vgprValuA_X3_I0+4+0+0:vgprValuA_X3_I0+4+0+0+1], a[56:59]
/*  mfmaIndex:110  */
s_addc_u32  s[sgprSrdB+1], s[sgprSrdB+1], 0        // gra SRD += inc(upper)
v_mfma_f32_16x16x16_f16 a[52+0:55+0], v[vgprValuB_X3_I0+6+0+0:vgprValuB_X3_I0+6+0+0+1], v[vgprValuA_X3_I0+2+0+0:vgprValuA_X3_I0+2+0+0+1], a[52:55]
/*  mfmaIndex:111  */
s_sub_u32 s[sgprShadowLimitB+0], s[sgprShadowLimitB+0], s[sgprGlobalReadIncsB+0] // limit -= inc)
v_mfma_f32_16x16x16_f16 a[48+0:51+0], v[vgprValuB_X3_I0+6+0+0:vgprValuB_X3_I0+6+0+0+1], v[vgprValuA_X3_I0+0+0+0:vgprValuA_X3_I0+0+0+0+1], a[48:51]
/*  mfmaIndex:112  */
s_subb_u32 s[sgprShadowLimitB+1], s[sgprShadowLimitB+1], 0 // limit -= inc)
v_mfma_f32_16x16x16_f16 a[64+0:67+0], v[vgprValuB_X3_I0+8+0+0:vgprValuB_X3_I0+8+0+0+1], v[vgprValuA_X3_I0+0+0+0:vgprValuA_X3_I0+0+0+0+1], a[64:67]
/*  mfmaIndex:113  */
s_cmp_eq_u32 s[sgprShadowLimitB+1], 0              // are we within 2^32?
v_mfma_f32_16x16x16_f16 a[68+0:71+0], v[vgprValuB_X3_I0+8+0+0:vgprValuB_X3_I0+8+0+0+1], v[vgprValuA_X3_I0+2+0+0:vgprValuA_X3_I0+2+0+0+1], a[68:71]
/*  mfmaIndex:114  */
s_cmov_b32 s[sgprSrdB+2], s[sgprShadowLimitB+0]    // Move shadow to real if we are within 2^32
s_waitcnt lgkmcnt(0)                               // lgkmcnt=0 vmcnt=-13wait for local write
s_barrier
v_mfma_f32_16x16x16_f16 a[72+0:75+0], v[vgprValuB_X3_I0+8+0+0:vgprValuB_X3_I0+8+0+0+1], v[vgprValuA_X3_I0+4+0+0:vgprValuA_X3_I0+4+0+0+1], a[72:75]
/*  mfmaIndex:115  */

/* global read inc A loopL */
s_add_u32 s[sgprSrdA+0], s[sgprSrdA+0], s[sgprGlobalReadIncsA+0] // gra SRD += inc(lower)
s_setprio 3                                        // store optimization
_ds_load_b64 v[vgprValuB_X0_I0_D0+0:vgprValuB_X0_I0_D0+0+1], v[vgprLocalReadAddrB] offset:0 // L -> Reg lro=0 swapByteOffset=0 ti=64 vIdx=0 rIdx=0 oIdx=0 buffer=0 iui=0
v_mfma_f32_16x16x16_f16 a[76+0:79+0], v[vgprValuB_X3_I0+8+0+0:vgprValuB_X3_I0+8+0+0+1], v[vgprValuA_X3_I0+6+0+0:vgprValuA_X3_I0+6+0+0+1], a[76:79]
/*  mfmaIndex:116  */
s_addc_u32  s[sgprSrdA+1], s[sgprSrdA+1], 0        // gra SRD += inc(upper)
_ds_load_b64 v[vgprValuB_X0_I0_D1+0:vgprValuB_X0_I0_D1+0+1], v[vgprLocalReadAddrB] offset:256 // L -> Reg lro=0 swapByteOffset=0 ti=64 vIdx=0 rIdx=1 oIdx=0 buffer=0 iui=0
v_mfma_f32_16x16x16_f16 a[92+0:95+0], v[vgprValuB_X3_I0+10+0+0:vgprValuB_X3_I0+10+0+0+1], v[vgprValuA_X3_I0+6+0+0:vgprValuA_X3_I0+6+0+0+1], a[92:95]
/*  mfmaIndex:117  */
s_sub_u32 s[sgprShadowLimitA+0], s[sgprShadowLimitA+0], s[sgprGlobalReadIncsA+0] // limit -= inc)
_ds_load_b64 v[vgprValuB_X0_I0_D2+0:vgprValuB_X0_I0_D2+0+1], v[vgprLocalReadAddrB] offset:512 // L -> Reg lro=0 swapByteOffset=0 ti=64 vIdx=0 rIdx=2 oIdx=0 buffer=0 iui=0
v_mfma_f32_16x16x16_f16 a[88+0:91+0], v[vgprValuB_X3_I0+10+0+0:vgprValuB_X3_I0+10+0+0+1], v[vgprValuA_X3_I0+4+0+0:vgprValuA_X3_I0+4+0+0+1], a[88:91]
/*  mfmaIndex:118  */
s_subb_u32 s[sgprShadowLimitA+1], s[sgprShadowLimitA+1], 0 // limit -= inc)
_ds_load_b64 v[vgprValuB_X0_I0_D3+0:vgprValuB_X0_I0_D3+0+1], v[vgprLocalReadAddrB] offset:768 // L -> Reg lro=0 swapByteOffset=0 ti=64 vIdx=0 rIdx=3 oIdx=0 buffer=0 iui=0
v_mfma_f32_16x16x16_f16 a[84+0:87+0], v[vgprValuB_X3_I0+10+0+0:vgprValuB_X3_I0+10+0+0+1], v[vgprValuA_X3_I0+2+0+0:vgprValuA_X3_I0+2+0+0+1], a[84:87]
/*  mfmaIndex:119  */
s_cmp_eq_u32 s[sgprShadowLimitA+1], 0              // are we within 2^32?
_ds_load_b64 v[vgprValuB_X0_I0_D0+2:vgprValuB_X0_I0_D0+2+1], v[vgprLocalReadAddrB] offset:128 // L -> Reg lro=0 swapByteOffset=0 ti=64 vIdx=1 rIdx=0 oIdx=0 buffer=0 iui=0
v_mfma_f32_16x16x16_f16 a[80+0:83+0], v[vgprValuB_X3_I0+10+0+0:vgprValuB_X3_I0+10+0+0+1], v[vgprValuA_X3_I0+0+0+0:vgprValuA_X3_I0+0+0+0+1], a[80:83]
/*  mfmaIndex:120  */
s_cmov_b32 s[sgprSrdA+2], s[sgprShadowLimitA+0]    // Move shadow to real if we are within 2^32
_ds_load_b64 v[vgprValuB_X0_I0_D1+2:vgprValuB_X0_I0_D1+2+1], v[vgprLocalReadAddrB] offset:384 // L -> Reg lro=0 swapByteOffset=0 ti=64 vIdx=1 rIdx=1 oIdx=0 buffer=0 iui=0
v_mfma_f32_16x16x16_f16 a[96+0:99+0], v[vgprValuB_X3_I0+12+0+0:vgprValuB_X3_I0+12+0+0+1], v[vgprValuA_X3_I0+0+0+0:vgprValuA_X3_I0+0+0+0+1], a[96:99]
/*  mfmaIndex:121  */
_ds_load_b64 v[vgprValuB_X0_I0_D2+2:vgprValuB_X0_I0_D2+2+1], v[vgprLocalReadAddrB] offset:640 // L -> Reg lro=0 swapByteOffset=0 ti=64 vIdx=1 rIdx=2 oIdx=0 buffer=0 iui=0
v_mfma_f32_16x16x16_f16 a[100+0:103+0], v[vgprValuB_X3_I0+12+0+0:vgprValuB_X3_I0+12+0+0+1], v[vgprValuA_X3_I0+2+0+0:vgprValuA_X3_I0+2+0+0+1], a[100:103]
/*  mfmaIndex:122  */
_ds_load_b64 v[vgprValuB_X0_I0_D3+2:vgprValuB_X0_I0_D3+2+1], v[vgprLocalReadAddrB] offset:896 // L -> Reg lro=0 swapByteOffset=0 ti=64 vIdx=1 rIdx=3 oIdx=0 buffer=0 iui=0
v_mfma_f32_16x16x16_f16 a[104+0:107+0], v[vgprValuB_X3_I0+12+0+0:vgprValuB_X3_I0+12+0+0+1], v[vgprValuA_X3_I0+4+0+0:vgprValuA_X3_I0+4+0+0+1], a[104:107]
/*  mfmaIndex:123  */
v_mfma_f32_16x16x16_f16 a[108+0:111+0], v[vgprValuB_X3_I0+12+0+0:vgprValuB_X3_I0+12+0+0+1], v[vgprValuA_X3_I0+6+0+0:vgprValuA_X3_I0+6+0+0+1], a[108:111]
/*  mfmaIndex:124  */
v_mfma_f32_16x16x16_f16 a[124+0:127+0], v[vgprValuB_X3_I0+14+0+0:vgprValuB_X3_I0+14+0+0+1], v[vgprValuA_X3_I0+6+0+0:vgprValuA_X3_I0+6+0+0+1], a[124:127]
/*  mfmaIndex:125  */
v_mfma_f32_16x16x16_f16 a[120+0:123+0], v[vgprValuB_X3_I0+14+0+0:vgprValuB_X3_I0+14+0+0+1], v[vgprValuA_X3_I0+4+0+0:vgprValuA_X3_I0+4+0+0+1], a[120:123]
/*  mfmaIndex:126  */
v_mfma_f32_16x16x16_f16 a[116+0:119+0], v[vgprValuB_X3_I0+14+0+0:vgprValuB_X3_I0+14+0+0+1], v[vgprValuA_X3_I0+2+0+0:vgprValuA_X3_I0+2+0+0+1], a[116:119]
/*  mfmaIndex:127  */
v_mfma_f32_16x16x16_f16 a[112+0:115+0], v[vgprValuB_X3_I0+14+0+0:vgprValuB_X3_I0+14+0+0+1], v[vgprValuA_X3_I0+0+0+0:vgprValuA_X3_I0+0+0+0+1], a[112:115]
s_setprio 0                                        // store optimization
/* numPrefetchIter=1 */
/* dataAtIterA=2 numReadsIterA=3 skipReadsIterA=1 readsPerIterA=1 */
/* dataAtIterB=2 numReadsIterB=3 skipReadsIterB=1 readsPerIterB=8 */


/******************************************/
/* Unrolled Loop - End 1/2                */
/******************************************/


/* closeLoop loopL finalLoop=0 tailLoop=0 */
s_sub_u32 s[sgprLoopCounterL], s[sgprLoopCounterL], 1 // dec counterL
s_cmp_eq_i32 s[sgprLoopCounterL], 0x1              // counterL==1
s_cbranch_scc1 LoopEndL_oddexit_3                  // exit LoopL


/******************************************/
/* Unrolled Loop 2/2 - Begin              */
/******************************************/

label_0014: // LoopCopy2 


/* Begin Each Unroll: Check VGPR.checkin for INT8 LW */


	;; [unrolled: 1-line block ×3, first 2 shown]
/* iter 0 */

s_waitcnt vmcnt(12)                                // lgkmcnt=-1 vmcnt=12global read wait for DirectToVgpr

/*  grEndMfmaIndex:108, lwStartMfmaIndex:108, lwEndMfmaIndex:108  */
/*  numMfmaForLR:13, barrierMfmaIndex:114 */
/*  mfmaIndex:0  */
_buffer_load_b64 v[vgprG2LB+0:vgprG2LB+0+1], v[vgprGlobalReadOffsetB+0], s[sgprSrdB:sgprSrdB+3], 0, offen offset:0 // G -> Reg 0_0_0_0
s_waitcnt lgkmcnt(0)                               // lgkmcnt=0 vmcnt=-1wait for prior local read local write old=0, new=0 newLW=0 newLR=0
/* pack scheduling: packAIdx:2, packBIdx:2 */
v_perm_b32 v[vgprValuA_X4_I0+0], v[vgprValuA_X4_I0_D1+0], v[vgprValuA_X4_I0_D0+0], s[sgprPackKForV0] // select K=01 for vector=0
v_perm_b32 v[vgprValuA_X4_I0+1], v[vgprValuA_X4_I0_D3+0], v[vgprValuA_X4_I0_D2+0], s[sgprPackKForV0] // select K=23 for vector=0
v_perm_b32 v[vgprValuB_X0_I0+0], v[vgprValuB_X0_I0_D1+0], v[vgprValuB_X0_I0_D0+0], s[sgprPackKForV0] // select K=01 for vector=0
v_perm_b32 v[vgprValuB_X0_I0+1], v[vgprValuB_X0_I0_D3+0], v[vgprValuB_X0_I0_D2+0], s[sgprPackKForV0] // select K=23 for vector=0
v_perm_b32 v[vgprValuA_X4_I0+2], v[vgprValuA_X4_I0_D1+0], v[vgprValuA_X4_I0_D0+0], s[sgprPackKForV1] // select K=01 for vector=1
v_perm_b32 v[vgprValuA_X4_I0+3], v[vgprValuA_X4_I0_D3+0], v[vgprValuA_X4_I0_D2+0], s[sgprPackKForV1] // select K=23 for vector=1
v_mfma_f32_16x16x16_f16 a[0+0:3+0], v[vgprValuB_X0_I0+0+0+0:vgprValuB_X0_I0+0+0+0+1], v[vgprValuA_X4_I0+0+0+0:vgprValuA_X4_I0+0+0+0+1], a[0:3]
/*  mfmaIndex:1  */
_ds_load_b64 v[vgprValuB_X1_I0_D0+0:vgprValuB_X1_I0_D0+0+1], v[vgprLocalReadAddrB] offset:4096 // L -> Reg lro=2048 swapByteOffset=0 ti=64 vIdx=0 rIdx=0 oIdx=0 buffer=1 iui=0
s_setprio 3                                        // store optimization
/* pack scheduling: packAIdx:4, packBIdx:2 */
v_perm_b32 v[vgprValuA_X4_I0+4], v[vgprValuA_X4_I0_D1+1], v[vgprValuA_X4_I0_D0+1], s[sgprPackKForV0] // select K=01 for vector=0
v_perm_b32 v[vgprValuA_X4_I0+5], v[vgprValuA_X4_I0_D3+1], v[vgprValuA_X4_I0_D2+1], s[sgprPackKForV0] // select K=23 for vector=0
v_mfma_f32_16x16x16_f16 a[4+0:7+0], v[vgprValuB_X0_I0+0+0+0:vgprValuB_X0_I0+0+0+0+1], v[vgprValuA_X4_I0+2+0+0:vgprValuA_X4_I0+2+0+0+1], a[4:7]
/*  mfmaIndex:2  */
_ds_load_b64 v[vgprValuB_X1_I0_D1+0:vgprValuB_X1_I0_D1+0+1], v[vgprLocalReadAddrB] offset:4352 // L -> Reg lro=2048 swapByteOffset=0 ti=64 vIdx=0 rIdx=1 oIdx=0 buffer=1 iui=0
/* pack scheduling: packAIdx:6, packBIdx:2 */
v_perm_b32 v[vgprValuA_X4_I0+6], v[vgprValuA_X4_I0_D1+1], v[vgprValuA_X4_I0_D0+1], s[sgprPackKForV1] // select K=01 for vector=1
v_perm_b32 v[vgprValuA_X4_I0+7], v[vgprValuA_X4_I0_D3+1], v[vgprValuA_X4_I0_D2+1], s[sgprPackKForV1] // select K=23 for vector=1
v_mfma_f32_16x16x16_f16 a[8+0:11+0], v[vgprValuB_X0_I0+0+0+0:vgprValuB_X0_I0+0+0+0+1], v[vgprValuA_X4_I0+4+0+0:vgprValuA_X4_I0+4+0+0+1], a[8:11]
/*  mfmaIndex:3  */
_ds_load_b64 v[vgprValuB_X1_I0_D2+0:vgprValuB_X1_I0_D2+0+1], v[vgprLocalReadAddrB] offset:4608 // L -> Reg lro=2048 swapByteOffset=0 ti=64 vIdx=0 rIdx=2 oIdx=0 buffer=1 iui=0
/* pack scheduling: packAIdx:8, packBIdx:2 */
v_perm_b32 v[vgprValuB_X0_I0+2], v[vgprValuB_X0_I0_D1+0], v[vgprValuB_X0_I0_D0+0], s[sgprPackKForV1] // select K=01 for vector=1
v_perm_b32 v[vgprValuB_X0_I0+3], v[vgprValuB_X0_I0_D3+0], v[vgprValuB_X0_I0_D2+0], s[sgprPackKForV1] // select K=23 for vector=1
v_mfma_f32_16x16x16_f16 a[12+0:15+0], v[vgprValuB_X0_I0+0+0+0:vgprValuB_X0_I0+0+0+0+1], v[vgprValuA_X4_I0+6+0+0:vgprValuA_X4_I0+6+0+0+1], a[12:15]
/*  mfmaIndex:4  */
_ds_load_b64 v[vgprValuB_X1_I0_D3+0:vgprValuB_X1_I0_D3+0+1], v[vgprLocalReadAddrB] offset:4864 // L -> Reg lro=2048 swapByteOffset=0 ti=64 vIdx=0 rIdx=3 oIdx=0 buffer=1 iui=0
/* pack scheduling: packAIdx:8, packBIdx:4 */
v_perm_b32 v[vgprValuB_X0_I0+4], v[vgprValuB_X0_I0_D1+1], v[vgprValuB_X0_I0_D0+1], s[sgprPackKForV0] // select K=01 for vector=0
v_perm_b32 v[vgprValuB_X0_I0+5], v[vgprValuB_X0_I0_D3+1], v[vgprValuB_X0_I0_D2+1], s[sgprPackKForV0] // select K=23 for vector=0
v_mfma_f32_16x16x16_f16 a[28+0:31+0], v[vgprValuB_X0_I0+2+0+0:vgprValuB_X0_I0+2+0+0+1], v[vgprValuA_X4_I0+6+0+0:vgprValuA_X4_I0+6+0+0+1], a[28:31]
/*  mfmaIndex:5  */
_ds_load_b64 v[vgprValuB_X1_I0_D0+2:vgprValuB_X1_I0_D0+2+1], v[vgprLocalReadAddrB] offset:4224 // L -> Reg lro=2048 swapByteOffset=0 ti=64 vIdx=1 rIdx=0 oIdx=0 buffer=1 iui=0
_buffer_load_b64 v[vgprG2LB+2:vgprG2LB+2+1], v[vgprGlobalReadOffsetB+1], s[sgprSrdB:sgprSrdB+3], 0, offen offset:0 // G -> Reg 0_0_1_0
/* pack scheduling: packAIdx:8, packBIdx:4 */
v_perm_b32 v[vgprValuB_X0_I0+6], v[vgprValuB_X0_I0_D1+1], v[vgprValuB_X0_I0_D0+1], s[sgprPackKForV1] // select K=01 for vector=1
v_perm_b32 v[vgprValuB_X0_I0+7], v[vgprValuB_X0_I0_D3+1], v[vgprValuB_X0_I0_D2+1], s[sgprPackKForV1] // select K=23 for vector=1
v_mfma_f32_16x16x16_f16 a[24+0:27+0], v[vgprValuB_X0_I0+2+0+0:vgprValuB_X0_I0+2+0+0+1], v[vgprValuA_X4_I0+4+0+0:vgprValuA_X4_I0+4+0+0+1], a[24:27]
/*  mfmaIndex:6  */
_ds_load_b64 v[vgprValuB_X1_I0_D1+2:vgprValuB_X1_I0_D1+2+1], v[vgprLocalReadAddrB] offset:4480 // L -> Reg lro=2048 swapByteOffset=0 ti=64 vIdx=1 rIdx=1 oIdx=0 buffer=1 iui=0
/* pack scheduling: packAIdx:8, packBIdx:4 */
v_perm_b32 v[vgprValuB_X0_I0+8], v[vgprValuB_X0_I0_D1+2], v[vgprValuB_X0_I0_D0+2], s[sgprPackKForV0] // select K=01 for vector=0
v_perm_b32 v[vgprValuB_X0_I0+9], v[vgprValuB_X0_I0_D3+2], v[vgprValuB_X0_I0_D2+2], s[sgprPackKForV0] // select K=23 for vector=0
v_mfma_f32_16x16x16_f16 a[20+0:23+0], v[vgprValuB_X0_I0+2+0+0:vgprValuB_X0_I0+2+0+0+1], v[vgprValuA_X4_I0+2+0+0:vgprValuA_X4_I0+2+0+0+1], a[20:23]
/*  mfmaIndex:7  */
_ds_load_b64 v[vgprValuB_X1_I0_D2+2:vgprValuB_X1_I0_D2+2+1], v[vgprLocalReadAddrB] offset:4736 // L -> Reg lro=2048 swapByteOffset=0 ti=64 vIdx=1 rIdx=2 oIdx=0 buffer=1 iui=0
/* pack scheduling: packAIdx:8, packBIdx:4 */
v_perm_b32 v[vgprValuB_X0_I0+10], v[vgprValuB_X0_I0_D1+2], v[vgprValuB_X0_I0_D0+2], s[sgprPackKForV1] // select K=01 for vector=1
v_perm_b32 v[vgprValuB_X0_I0+11], v[vgprValuB_X0_I0_D3+2], v[vgprValuB_X0_I0_D2+2], s[sgprPackKForV1] // select K=23 for vector=1
v_mfma_f32_16x16x16_f16 a[16+0:19+0], v[vgprValuB_X0_I0+2+0+0:vgprValuB_X0_I0+2+0+0+1], v[vgprValuA_X4_I0+0+0+0:vgprValuA_X4_I0+0+0+0+1], a[16:19]
/*  mfmaIndex:8  */
_ds_load_b64 v[vgprValuB_X1_I0_D3+2:vgprValuB_X1_I0_D3+2+1], v[vgprLocalReadAddrB] offset:4992 // L -> Reg lro=2048 swapByteOffset=0 ti=64 vIdx=1 rIdx=3 oIdx=0 buffer=1 iui=0
/* pack scheduling: packAIdx:8, packBIdx:6 */
v_perm_b32 v[vgprValuB_X0_I0+12], v[vgprValuB_X0_I0_D1+3], v[vgprValuB_X0_I0_D0+3], s[sgprPackKForV0] // select K=01 for vector=0
v_perm_b32 v[vgprValuB_X0_I0+13], v[vgprValuB_X0_I0_D3+3], v[vgprValuB_X0_I0_D2+3], s[sgprPackKForV0] // select K=23 for vector=0
v_mfma_f32_16x16x16_f16 a[32+0:35+0], v[vgprValuB_X0_I0+4+0+0:vgprValuB_X0_I0+4+0+0+1], v[vgprValuA_X4_I0+0+0+0:vgprValuA_X4_I0+0+0+0+1], a[32:35]
/*  mfmaIndex:9  */
/* localReadsVacancy: latencyLeft 2 */
_ds_load_b64 v[vgprValuB_X2_I0_D0+0:vgprValuB_X2_I0_D0+0+1], v[vgprLocalReadAddrB] offset:8192 // L -> Reg lro=4096 swapByteOffset=0 ti=64 vIdx=0 rIdx=0 oIdx=0 buffer=2 iui=0
/* pack scheduling: packAIdx:8, packBIdx:6 */
v_perm_b32 v[vgprValuB_X0_I0+14], v[vgprValuB_X0_I0_D1+3], v[vgprValuB_X0_I0_D0+3], s[sgprPackKForV1] // select K=01 for vector=1
v_perm_b32 v[vgprValuB_X0_I0+15], v[vgprValuB_X0_I0_D3+3], v[vgprValuB_X0_I0_D2+3], s[sgprPackKForV1] // select K=23 for vector=1
v_mfma_f32_16x16x16_f16 a[36+0:39+0], v[vgprValuB_X0_I0+4+0+0:vgprValuB_X0_I0+4+0+0+1], v[vgprValuA_X4_I0+2+0+0:vgprValuA_X4_I0+2+0+0+1], a[36:39]
/*  mfmaIndex:10  */
/* localReadsVacancy: latencyLeft 2 */
_ds_load_b64 v[vgprValuB_X2_I0_D1+0:vgprValuB_X2_I0_D1+0+1], v[vgprLocalReadAddrB] offset:8448 // L -> Reg lro=4096 swapByteOffset=0 ti=64 vIdx=0 rIdx=1 oIdx=0 buffer=2 iui=0
_buffer_load_b64 v[vgprG2LB+4:vgprG2LB+4+1], v[vgprGlobalReadOffsetB+2], s[sgprSrdB:sgprSrdB+3], 0, offen offset:0 // G -> Reg 0_0_2_0
v_mfma_f32_16x16x16_f16 a[40+0:43+0], v[vgprValuB_X0_I0+4+0+0:vgprValuB_X0_I0+4+0+0+1], v[vgprValuA_X4_I0+4+0+0:vgprValuA_X4_I0+4+0+0+1], a[40:43]
/*  mfmaIndex:11  */
/* localReadsVacancy: latencyLeft 2 */
_ds_load_b64 v[vgprValuB_X2_I0_D2+0:vgprValuB_X2_I0_D2+0+1], v[vgprLocalReadAddrB] offset:8704 // L -> Reg lro=4096 swapByteOffset=0 ti=64 vIdx=0 rIdx=2 oIdx=0 buffer=2 iui=0
v_mfma_f32_16x16x16_f16 a[44+0:47+0], v[vgprValuB_X0_I0+4+0+0:vgprValuB_X0_I0+4+0+0+1], v[vgprValuA_X4_I0+6+0+0:vgprValuA_X4_I0+6+0+0+1], a[44:47]
/*  mfmaIndex:12  */
/* localReadsVacancy: latencyLeft 2 */
_ds_load_b64 v[vgprValuB_X2_I0_D3+0:vgprValuB_X2_I0_D3+0+1], v[vgprLocalReadAddrB] offset:8960 // L -> Reg lro=4096 swapByteOffset=0 ti=64 vIdx=0 rIdx=3 oIdx=0 buffer=2 iui=0
v_mfma_f32_16x16x16_f16 a[60+0:63+0], v[vgprValuB_X0_I0+6+0+0:vgprValuB_X0_I0+6+0+0+1], v[vgprValuA_X4_I0+6+0+0:vgprValuA_X4_I0+6+0+0+1], a[60:63]
/*  mfmaIndex:13  */
/* localReadsVacancy: latencyLeft 2 */
_ds_load_b64 v[vgprValuB_X2_I0_D0+2:vgprValuB_X2_I0_D0+2+1], v[vgprLocalReadAddrB] offset:8320 // L -> Reg lro=4096 swapByteOffset=0 ti=64 vIdx=1 rIdx=0 oIdx=0 buffer=2 iui=0
v_mfma_f32_16x16x16_f16 a[56+0:59+0], v[vgprValuB_X0_I0+6+0+0:vgprValuB_X0_I0+6+0+0+1], v[vgprValuA_X4_I0+4+0+0:vgprValuA_X4_I0+4+0+0+1], a[56:59]
/*  mfmaIndex:14  */
/* localReadsVacancy: latencyLeft 2 */
_ds_load_b64 v[vgprValuB_X2_I0_D1+2:vgprValuB_X2_I0_D1+2+1], v[vgprLocalReadAddrB] offset:8576 // L -> Reg lro=4096 swapByteOffset=0 ti=64 vIdx=1 rIdx=1 oIdx=0 buffer=2 iui=0
v_mfma_f32_16x16x16_f16 a[52+0:55+0], v[vgprValuB_X0_I0+6+0+0:vgprValuB_X0_I0+6+0+0+1], v[vgprValuA_X4_I0+2+0+0:vgprValuA_X4_I0+2+0+0+1], a[52:55]
/*  mfmaIndex:15  */
/* localReadsVacancy: latencyLeft 2 */
_ds_load_b64 v[vgprValuB_X2_I0_D2+2:vgprValuB_X2_I0_D2+2+1], v[vgprLocalReadAddrB] offset:8832 // L -> Reg lro=4096 swapByteOffset=0 ti=64 vIdx=1 rIdx=2 oIdx=0 buffer=2 iui=0
_buffer_load_b64 v[vgprG2LB+6:vgprG2LB+6+1], v[vgprGlobalReadOffsetB+3], s[sgprSrdB:sgprSrdB+3], 0, offen offset:0 // G -> Reg 0_0_3_0
v_mfma_f32_16x16x16_f16 a[48+0:51+0], v[vgprValuB_X0_I0+6+0+0:vgprValuB_X0_I0+6+0+0+1], v[vgprValuA_X4_I0+0+0+0:vgprValuA_X4_I0+0+0+0+1], a[48:51]
/*  mfmaIndex:16  */
/* localReadsVacancy: latencyLeft 2 */
_ds_load_b64 v[vgprValuB_X2_I0_D3+2:vgprValuB_X2_I0_D3+2+1], v[vgprLocalReadAddrB] offset:9088 // L -> Reg lro=4096 swapByteOffset=0 ti=64 vIdx=1 rIdx=3 oIdx=0 buffer=2 iui=0
v_mfma_f32_16x16x16_f16 a[64+0:67+0], v[vgprValuB_X0_I0+8+0+0:vgprValuB_X0_I0+8+0+0+1], v[vgprValuA_X4_I0+0+0+0:vgprValuA_X4_I0+0+0+0+1], a[64:67]
/*  mfmaIndex:17  */
/* localReadsVacancy: latencyLeft 2 */
_ds_load_b64 v[vgprValuB_X3_I0_D0+0:vgprValuB_X3_I0_D0+0+1], v[vgprLocalReadAddrB] offset:12288 // L -> Reg lro=6144 swapByteOffset=0 ti=64 vIdx=0 rIdx=0 oIdx=0 buffer=3 iui=0
v_mfma_f32_16x16x16_f16 a[68+0:71+0], v[vgprValuB_X0_I0+8+0+0:vgprValuB_X0_I0+8+0+0+1], v[vgprValuA_X4_I0+2+0+0:vgprValuA_X4_I0+2+0+0+1], a[68:71]
/*  mfmaIndex:18  */
/* localReadsVacancy: latencyLeft 2 */
_ds_load_b64 v[vgprValuB_X3_I0_D1+0:vgprValuB_X3_I0_D1+0+1], v[vgprLocalReadAddrB] offset:12544 // L -> Reg lro=6144 swapByteOffset=0 ti=64 vIdx=0 rIdx=1 oIdx=0 buffer=3 iui=0
v_mfma_f32_16x16x16_f16 a[72+0:75+0], v[vgprValuB_X0_I0+8+0+0:vgprValuB_X0_I0+8+0+0+1], v[vgprValuA_X4_I0+4+0+0:vgprValuA_X4_I0+4+0+0+1], a[72:75]
/*  mfmaIndex:19  */
/* localReadsVacancy: latencyLeft 2 */
_ds_load_b64 v[vgprValuB_X3_I0_D2+0:vgprValuB_X3_I0_D2+0+1], v[vgprLocalReadAddrB] offset:12800 // L -> Reg lro=6144 swapByteOffset=0 ti=64 vIdx=0 rIdx=2 oIdx=0 buffer=3 iui=0
v_mfma_f32_16x16x16_f16 a[76+0:79+0], v[vgprValuB_X0_I0+8+0+0:vgprValuB_X0_I0+8+0+0+1], v[vgprValuA_X4_I0+6+0+0:vgprValuA_X4_I0+6+0+0+1], a[76:79]
/*  mfmaIndex:20  */
/* localReadsVacancy: latencyLeft 2 */
_ds_load_b64 v[vgprValuB_X3_I0_D3+0:vgprValuB_X3_I0_D3+0+1], v[vgprLocalReadAddrB] offset:13056 // L -> Reg lro=6144 swapByteOffset=0 ti=64 vIdx=0 rIdx=3 oIdx=0 buffer=3 iui=0
_buffer_load_b64 v[vgprG2LB+8:vgprG2LB+8+1], v[vgprGlobalReadOffsetB+4], s[sgprSrdB:sgprSrdB+3], 0, offen offset:0 // G -> Reg 0_0_4_0
v_mfma_f32_16x16x16_f16 a[92+0:95+0], v[vgprValuB_X0_I0+10+0+0:vgprValuB_X0_I0+10+0+0+1], v[vgprValuA_X4_I0+6+0+0:vgprValuA_X4_I0+6+0+0+1], a[92:95]
/*  mfmaIndex:21  */
/* localReadsVacancy: latencyLeft 2 */
_ds_load_b64 v[vgprValuB_X3_I0_D0+2:vgprValuB_X3_I0_D0+2+1], v[vgprLocalReadAddrB] offset:12416 // L -> Reg lro=6144 swapByteOffset=0 ti=64 vIdx=1 rIdx=0 oIdx=0 buffer=3 iui=0
v_mfma_f32_16x16x16_f16 a[88+0:91+0], v[vgprValuB_X0_I0+10+0+0:vgprValuB_X0_I0+10+0+0+1], v[vgprValuA_X4_I0+4+0+0:vgprValuA_X4_I0+4+0+0+1], a[88:91]
/*  mfmaIndex:22  */
/* localReadsVacancy: latencyLeft 2 */
_ds_load_b64 v[vgprValuB_X3_I0_D1+2:vgprValuB_X3_I0_D1+2+1], v[vgprLocalReadAddrB] offset:12672 // L -> Reg lro=6144 swapByteOffset=0 ti=64 vIdx=1 rIdx=1 oIdx=0 buffer=3 iui=0
v_mfma_f32_16x16x16_f16 a[84+0:87+0], v[vgprValuB_X0_I0+10+0+0:vgprValuB_X0_I0+10+0+0+1], v[vgprValuA_X4_I0+2+0+0:vgprValuA_X4_I0+2+0+0+1], a[84:87]
/*  mfmaIndex:23  */
/* localReadsVacancy: latencyLeft 2 */
_ds_load_b64 v[vgprValuB_X3_I0_D2+2:vgprValuB_X3_I0_D2+2+1], v[vgprLocalReadAddrB] offset:12928 // L -> Reg lro=6144 swapByteOffset=0 ti=64 vIdx=1 rIdx=2 oIdx=0 buffer=3 iui=0
v_mfma_f32_16x16x16_f16 a[80+0:83+0], v[vgprValuB_X0_I0+10+0+0:vgprValuB_X0_I0+10+0+0+1], v[vgprValuA_X4_I0+0+0+0:vgprValuA_X4_I0+0+0+0+1], a[80:83]
/*  mfmaIndex:24  */
/* localReadsVacancy: latencyLeft 2 */
_ds_load_b64 v[vgprValuB_X3_I0_D3+2:vgprValuB_X3_I0_D3+2+1], v[vgprLocalReadAddrB] offset:13184 // L -> Reg lro=6144 swapByteOffset=0 ti=64 vIdx=1 rIdx=3 oIdx=0 buffer=3 iui=0
v_mfma_f32_16x16x16_f16 a[96+0:99+0], v[vgprValuB_X0_I0+12+0+0:vgprValuB_X0_I0+12+0+0+1], v[vgprValuA_X4_I0+0+0+0:vgprValuA_X4_I0+0+0+0+1], a[96:99]
/*  mfmaIndex:25  */
/* localReadsVacancy: latencyLeft 2 */
_buffer_load_b64 v[vgprG2LB+10:vgprG2LB+10+1], v[vgprGlobalReadOffsetB+5], s[sgprSrdB:sgprSrdB+3], 0, offen offset:0 // G -> Reg 0_0_5_0
v_mfma_f32_16x16x16_f16 a[100+0:103+0], v[vgprValuB_X0_I0+12+0+0:vgprValuB_X0_I0+12+0+0+1], v[vgprValuA_X4_I0+2+0+0:vgprValuA_X4_I0+2+0+0+1], a[100:103]
/*  mfmaIndex:26  */
/* localReadsVacancy: latencyLeft 2 */
v_mfma_f32_16x16x16_f16 a[104+0:107+0], v[vgprValuB_X0_I0+12+0+0:vgprValuB_X0_I0+12+0+0+1], v[vgprValuA_X4_I0+4+0+0:vgprValuA_X4_I0+4+0+0+1], a[104:107]
/*  mfmaIndex:27  */
/* localReadsVacancy: latencyLeft 2 */
	;; [unrolled: 3-line block ×5, first 2 shown]
_buffer_load_b64 v[vgprG2LB+12:vgprG2LB+12+1], v[vgprGlobalReadOffsetB+6], s[sgprSrdB:sgprSrdB+3], 0, offen offset:0 // G -> Reg 0_0_6_0
v_mfma_f32_16x16x16_f16 a[116+0:119+0], v[vgprValuB_X0_I0+14+0+0:vgprValuB_X0_I0+14+0+0+1], v[vgprValuA_X4_I0+2+0+0:vgprValuA_X4_I0+2+0+0+1], a[116:119]
/*  mfmaIndex:31  */
/* localReadsVacancy: latencyLeft 2 */
_buffer_load_b64 v[vgprG2LB+14:vgprG2LB+14+1], v[vgprGlobalReadOffsetB+7], s[sgprSrdB:sgprSrdB+3], 0, offen offset:0 // G -> Reg 0_0_7_0
_buffer_load_b64 v[vgprG2LA0+0:vgprG2LA0+0+1], v[vgprGlobalReadOffsetA+0], s[sgprSrdA:sgprSrdA+3], 0, offen offset:0 // G -> Reg 0_0_0_0
v_mfma_f32_16x16x16_f16 a[112+0:115+0], v[vgprValuB_X0_I0+14+0+0:vgprValuB_X0_I0+14+0+0+1], v[vgprValuA_X4_I0+0+0+0:vgprValuA_X4_I0+0+0+0+1], a[112:115]
/* numPrefetchIter=0 */
/* dataAtIterA=-1 numReadsIterA=1 skipReadsIterA=1 readsPerIterA=1 */
/* dataAtIterB=-1 numReadsIterB=1 skipReadsIterB=1 readsPerIterB=8 */


/* iter 1 */

s_waitcnt vmcnt(17)                                // lgkmcnt=-1 vmcnt=17global read wait for DirectToVgpr

/*  grEndMfmaIndex:108, lwStartMfmaIndex:108, lwEndMfmaIndex:108  */
/*  numMfmaForLR:13, barrierMfmaIndex:114 */
/*  mfmaIndex:32  */
/* localReadsVacancy: latencyLeft 2 */
s_waitcnt lgkmcnt(15)                              // lgkmcnt=0 vmcnt=-1wait for prior local read local write old=8, new=8 newLW=0 newLR=0
/* pack scheduling: packAIdx:2, packBIdx:2 */
v_perm_b32 v[vgprValuA_X5_I0+0], v[vgprValuA_X5_I0_D1+0], v[vgprValuA_X5_I0_D0+0], s[sgprPackKForV0] // select K=01 for vector=0
v_perm_b32 v[vgprValuA_X5_I0+1], v[vgprValuA_X5_I0_D3+0], v[vgprValuA_X5_I0_D2+0], s[sgprPackKForV0] // select K=23 for vector=0
v_perm_b32 v[vgprValuB_X1_I0+0], v[vgprValuB_X1_I0_D1+0], v[vgprValuB_X1_I0_D0+0], s[sgprPackKForV0] // select K=01 for vector=0
v_perm_b32 v[vgprValuB_X1_I0+1], v[vgprValuB_X1_I0_D3+0], v[vgprValuB_X1_I0_D2+0], s[sgprPackKForV0] // select K=23 for vector=0
v_perm_b32 v[vgprValuA_X5_I0+2], v[vgprValuA_X5_I0_D1+0], v[vgprValuA_X5_I0_D0+0], s[sgprPackKForV1] // select K=01 for vector=1
v_perm_b32 v[vgprValuA_X5_I0+3], v[vgprValuA_X5_I0_D3+0], v[vgprValuA_X5_I0_D2+0], s[sgprPackKForV1] // select K=23 for vector=1
v_mfma_f32_16x16x16_f16 a[0+0:3+0], v[vgprValuB_X1_I0+0+0+0:vgprValuB_X1_I0+0+0+0+1], v[vgprValuA_X5_I0+0+0+0:vgprValuA_X5_I0+0+0+0+1], a[0:3]
/*  mfmaIndex:33  */
/* localReadsVacancy: latencyLeft 2 */
/* pack scheduling: packAIdx:4, packBIdx:2 */
v_perm_b32 v[vgprValuA_X5_I0+4], v[vgprValuA_X5_I0_D1+1], v[vgprValuA_X5_I0_D0+1], s[sgprPackKForV0] // select K=01 for vector=0
v_perm_b32 v[vgprValuA_X5_I0+5], v[vgprValuA_X5_I0_D3+1], v[vgprValuA_X5_I0_D2+1], s[sgprPackKForV0] // select K=23 for vector=0
v_mfma_f32_16x16x16_f16 a[4+0:7+0], v[vgprValuB_X1_I0+0+0+0:vgprValuB_X1_I0+0+0+0+1], v[vgprValuA_X5_I0+2+0+0:vgprValuA_X5_I0+2+0+0+1], a[4:7]
/*  mfmaIndex:34  */
/* localReadsVacancy: latencyLeft 2 */
_buffer_load_b64 v[vgprG2LA0+2:vgprG2LA0+2+1], v[vgprGlobalReadOffsetA+1], s[sgprSrdA:sgprSrdA+3], 0, offen offset:0 // G -> Reg 0_0_1_0
/* pack scheduling: packAIdx:6, packBIdx:2 */
v_perm_b32 v[vgprValuA_X5_I0+6], v[vgprValuA_X5_I0_D1+1], v[vgprValuA_X5_I0_D0+1], s[sgprPackKForV1] // select K=01 for vector=1
v_perm_b32 v[vgprValuA_X5_I0+7], v[vgprValuA_X5_I0_D3+1], v[vgprValuA_X5_I0_D2+1], s[sgprPackKForV1] // select K=23 for vector=1
v_mfma_f32_16x16x16_f16 a[8+0:11+0], v[vgprValuB_X1_I0+0+0+0:vgprValuB_X1_I0+0+0+0+1], v[vgprValuA_X5_I0+4+0+0:vgprValuA_X5_I0+4+0+0+1], a[8:11]
/*  mfmaIndex:35  */
/* localReadsVacancy: latencyLeft 2 */
/* pack scheduling: packAIdx:8, packBIdx:2 */
v_perm_b32 v[vgprValuB_X1_I0+2], v[vgprValuB_X1_I0_D1+0], v[vgprValuB_X1_I0_D0+0], s[sgprPackKForV1] // select K=01 for vector=1
v_perm_b32 v[vgprValuB_X1_I0+3], v[vgprValuB_X1_I0_D3+0], v[vgprValuB_X1_I0_D2+0], s[sgprPackKForV1] // select K=23 for vector=1
v_mfma_f32_16x16x16_f16 a[12+0:15+0], v[vgprValuB_X1_I0+0+0+0:vgprValuB_X1_I0+0+0+0+1], v[vgprValuA_X5_I0+6+0+0:vgprValuA_X5_I0+6+0+0+1], a[12:15]
/*  mfmaIndex:36  */
/* localReadsVacancy: latencyLeft 2 */
/* pack scheduling: packAIdx:8, packBIdx:4 */
v_perm_b32 v[vgprValuB_X1_I0+4], v[vgprValuB_X1_I0_D1+1], v[vgprValuB_X1_I0_D0+1], s[sgprPackKForV0] // select K=01 for vector=0
v_perm_b32 v[vgprValuB_X1_I0+5], v[vgprValuB_X1_I0_D3+1], v[vgprValuB_X1_I0_D2+1], s[sgprPackKForV0] // select K=23 for vector=0
v_mfma_f32_16x16x16_f16 a[28+0:31+0], v[vgprValuB_X1_I0+2+0+0:vgprValuB_X1_I0+2+0+0+1], v[vgprValuA_X5_I0+6+0+0:vgprValuA_X5_I0+6+0+0+1], a[28:31]
/*  mfmaIndex:37  */
/* localReadsVacancy: latencyLeft 2 */
/* pack scheduling: packAIdx:8, packBIdx:4 */
v_perm_b32 v[vgprValuB_X1_I0+6], v[vgprValuB_X1_I0_D1+1], v[vgprValuB_X1_I0_D0+1], s[sgprPackKForV1] // select K=01 for vector=1
v_perm_b32 v[vgprValuB_X1_I0+7], v[vgprValuB_X1_I0_D3+1], v[vgprValuB_X1_I0_D2+1], s[sgprPackKForV1] // select K=23 for vector=1
v_mfma_f32_16x16x16_f16 a[24+0:27+0], v[vgprValuB_X1_I0+2+0+0:vgprValuB_X1_I0+2+0+0+1], v[vgprValuA_X5_I0+4+0+0:vgprValuA_X5_I0+4+0+0+1], a[24:27]
/*  mfmaIndex:38  */
/* localReadsVacancy: latencyLeft 2 */
/* pack scheduling: packAIdx:8, packBIdx:4 */
v_perm_b32 v[vgprValuB_X1_I0+8], v[vgprValuB_X1_I0_D1+2], v[vgprValuB_X1_I0_D0+2], s[sgprPackKForV0] // select K=01 for vector=0
v_perm_b32 v[vgprValuB_X1_I0+9], v[vgprValuB_X1_I0_D3+2], v[vgprValuB_X1_I0_D2+2], s[sgprPackKForV0] // select K=23 for vector=0
v_mfma_f32_16x16x16_f16 a[20+0:23+0], v[vgprValuB_X1_I0+2+0+0:vgprValuB_X1_I0+2+0+0+1], v[vgprValuA_X5_I0+2+0+0:vgprValuA_X5_I0+2+0+0+1], a[20:23]
/*  mfmaIndex:39  */
/* localReadsVacancy: latencyLeft 2 */
_buffer_load_b64 v[vgprG2LA0+4:vgprG2LA0+4+1], v[vgprGlobalReadOffsetA+2], s[sgprSrdA:sgprSrdA+3], 0, offen offset:0 // G -> Reg 0_0_2_0
/* pack scheduling: packAIdx:8, packBIdx:4 */
v_perm_b32 v[vgprValuB_X1_I0+10], v[vgprValuB_X1_I0_D1+2], v[vgprValuB_X1_I0_D0+2], s[sgprPackKForV1] // select K=01 for vector=1
v_perm_b32 v[vgprValuB_X1_I0+11], v[vgprValuB_X1_I0_D3+2], v[vgprValuB_X1_I0_D2+2], s[sgprPackKForV1] // select K=23 for vector=1
v_mfma_f32_16x16x16_f16 a[16+0:19+0], v[vgprValuB_X1_I0+2+0+0:vgprValuB_X1_I0+2+0+0+1], v[vgprValuA_X5_I0+0+0+0:vgprValuA_X5_I0+0+0+0+1], a[16:19]
/*  mfmaIndex:40  */
/* localReadsVacancy: latencyLeft 2 */
/* pack scheduling: packAIdx:8, packBIdx:6 */
v_perm_b32 v[vgprValuB_X1_I0+12], v[vgprValuB_X1_I0_D1+3], v[vgprValuB_X1_I0_D0+3], s[sgprPackKForV0] // select K=01 for vector=0
v_perm_b32 v[vgprValuB_X1_I0+13], v[vgprValuB_X1_I0_D3+3], v[vgprValuB_X1_I0_D2+3], s[sgprPackKForV0] // select K=23 for vector=0
v_mfma_f32_16x16x16_f16 a[32+0:35+0], v[vgprValuB_X1_I0+4+0+0:vgprValuB_X1_I0+4+0+0+1], v[vgprValuA_X5_I0+0+0+0:vgprValuA_X5_I0+0+0+0+1], a[32:35]
/*  mfmaIndex:41  */
/* localReadsVacancy: latencyLeft 2 */
/* pack scheduling: packAIdx:8, packBIdx:6 */
v_perm_b32 v[vgprValuB_X1_I0+14], v[vgprValuB_X1_I0_D1+3], v[vgprValuB_X1_I0_D0+3], s[sgprPackKForV1] // select K=01 for vector=1
v_perm_b32 v[vgprValuB_X1_I0+15], v[vgprValuB_X1_I0_D3+3], v[vgprValuB_X1_I0_D2+3], s[sgprPackKForV1] // select K=23 for vector=1
v_mfma_f32_16x16x16_f16 a[36+0:39+0], v[vgprValuB_X1_I0+4+0+0:vgprValuB_X1_I0+4+0+0+1], v[vgprValuA_X5_I0+2+0+0:vgprValuA_X5_I0+2+0+0+1], a[36:39]
/*  mfmaIndex:42  */
/* localReadsVacancy: latencyLeft 2 */
v_mfma_f32_16x16x16_f16 a[40+0:43+0], v[vgprValuB_X1_I0+4+0+0:vgprValuB_X1_I0+4+0+0+1], v[vgprValuA_X5_I0+4+0+0:vgprValuA_X5_I0+4+0+0+1], a[40:43]
/*  mfmaIndex:43  */
/* localReadsVacancy: latencyLeft 2 */
	;; [unrolled: 3-line block ×3, first 2 shown]
_buffer_load_b64 v[vgprG2LA0+6:vgprG2LA0+6+1], v[vgprGlobalReadOffsetA+3], s[sgprSrdA:sgprSrdA+3], 0, offen offset:0 // G -> Reg 0_0_3_0
v_mfma_f32_16x16x16_f16 a[60+0:63+0], v[vgprValuB_X1_I0+6+0+0:vgprValuB_X1_I0+6+0+0+1], v[vgprValuA_X5_I0+6+0+0:vgprValuA_X5_I0+6+0+0+1], a[60:63]
/*  mfmaIndex:45  */
/* localReadsVacancy: latencyLeft 2 */
v_mfma_f32_16x16x16_f16 a[56+0:59+0], v[vgprValuB_X1_I0+6+0+0:vgprValuB_X1_I0+6+0+0+1], v[vgprValuA_X5_I0+4+0+0:vgprValuA_X5_I0+4+0+0+1], a[56:59]
/*  mfmaIndex:46  */
/* localReadsVacancy: latencyLeft 2 */
	;; [unrolled: 3-line block ×5, first 2 shown]
_buffer_load_b64 v[vgprG2LA0+8:vgprG2LA0+8+1], v[vgprGlobalReadOffsetA+4], s[sgprSrdA:sgprSrdA+3], 0, offen offset:0 // G -> Reg 0_0_4_0
v_mfma_f32_16x16x16_f16 a[68+0:71+0], v[vgprValuB_X1_I0+8+0+0:vgprValuB_X1_I0+8+0+0+1], v[vgprValuA_X5_I0+2+0+0:vgprValuA_X5_I0+2+0+0+1], a[68:71]
/*  mfmaIndex:50  */
/* localReadsVacancy: latencyLeft 2 */
v_mfma_f32_16x16x16_f16 a[72+0:75+0], v[vgprValuB_X1_I0+8+0+0:vgprValuB_X1_I0+8+0+0+1], v[vgprValuA_X5_I0+4+0+0:vgprValuA_X5_I0+4+0+0+1], a[72:75]
/*  mfmaIndex:51  */
/* localReadsVacancy: latencyLeft 2 */
	;; [unrolled: 3-line block ×5, first 2 shown]
_buffer_load_b64 v[vgprG2LA0+10:vgprG2LA0+10+1], v[vgprGlobalReadOffsetA+5], s[sgprSrdA:sgprSrdA+3], 0, offen offset:0 // G -> Reg 0_0_5_0
v_mfma_f32_16x16x16_f16 a[84+0:87+0], v[vgprValuB_X1_I0+10+0+0:vgprValuB_X1_I0+10+0+0+1], v[vgprValuA_X5_I0+2+0+0:vgprValuA_X5_I0+2+0+0+1], a[84:87]
/*  mfmaIndex:55  */
/* localReadsVacancy: latencyLeft 2 */
v_mfma_f32_16x16x16_f16 a[80+0:83+0], v[vgprValuB_X1_I0+10+0+0:vgprValuB_X1_I0+10+0+0+1], v[vgprValuA_X5_I0+0+0+0:vgprValuA_X5_I0+0+0+0+1], a[80:83]
/*  mfmaIndex:56  */
/* localReadsVacancy: latencyLeft 2 */
	;; [unrolled: 3-line block ×5, first 2 shown]
_buffer_load_b64 v[vgprG2LA0+12:vgprG2LA0+12+1], v[vgprGlobalReadOffsetA+6], s[sgprSrdA:sgprSrdA+3], 0, offen offset:0 // G -> Reg 0_0_6_0
v_mfma_f32_16x16x16_f16 a[108+0:111+0], v[vgprValuB_X1_I0+12+0+0:vgprValuB_X1_I0+12+0+0+1], v[vgprValuA_X5_I0+6+0+0:vgprValuA_X5_I0+6+0+0+1], a[108:111]
/*  mfmaIndex:60  */
/* localReadsVacancy: latencyLeft 2 */
v_mfma_f32_16x16x16_f16 a[124+0:127+0], v[vgprValuB_X1_I0+14+0+0:vgprValuB_X1_I0+14+0+0+1], v[vgprValuA_X5_I0+6+0+0:vgprValuA_X5_I0+6+0+0+1], a[124:127]
/*  mfmaIndex:61  */
/* localReadsVacancy: latencyLeft 2 */
	;; [unrolled: 3-line block ×4, first 2 shown]
v_mfma_f32_16x16x16_f16 a[112+0:115+0], v[vgprValuB_X1_I0+14+0+0:vgprValuB_X1_I0+14+0+0+1], v[vgprValuA_X5_I0+0+0+0:vgprValuA_X5_I0+0+0+0+1], a[112:115]
/* numPrefetchIter=0 */
/* dataAtIterA=0 numReadsIterA=2 skipReadsIterA=1 readsPerIterA=1 */
/* dataAtIterB=0 numReadsIterB=2 skipReadsIterB=1 readsPerIterB=8 */


/* iter 2 (reset local read pointers iteration)  (swap local read pointers iteration)  */

s_waitcnt vmcnt(19)                                // lgkmcnt=-1 vmcnt=19global read wait for DirectToVgpr

/*  grEndMfmaIndex:108, lwStartMfmaIndex:108, lwEndMfmaIndex:108  */
/*  numMfmaForLR:13, barrierMfmaIndex:114 */
/*  mfmaIndex:64  */
/* localReadsVacancy: latencyLeft 2 */
_buffer_load_b64 v[vgprG2LA0+14:vgprG2LA0+14+1], v[vgprGlobalReadOffsetA+7], s[sgprSrdA:sgprSrdA+3], 0, offen offset:0 // G -> Reg 0_0_7_0
s_waitcnt lgkmcnt(0)                               // lgkmcnt=0 vmcnt=-1wait for prior local read local write old=0, new=0 newLW=0 newLR=0
/* pack scheduling: packAIdx:2, packBIdx:2 */
v_perm_b32 v[vgprValuA_X6_I0+0], v[vgprValuA_X6_I0_D1+0], v[vgprValuA_X6_I0_D0+0], s[sgprPackKForV0] // select K=01 for vector=0
v_perm_b32 v[vgprValuA_X6_I0+1], v[vgprValuA_X6_I0_D3+0], v[vgprValuA_X6_I0_D2+0], s[sgprPackKForV0] // select K=23 for vector=0
v_perm_b32 v[vgprValuB_X2_I0+0], v[vgprValuB_X2_I0_D1+0], v[vgprValuB_X2_I0_D0+0], s[sgprPackKForV0] // select K=01 for vector=0
v_perm_b32 v[vgprValuB_X2_I0+1], v[vgprValuB_X2_I0_D3+0], v[vgprValuB_X2_I0_D2+0], s[sgprPackKForV0] // select K=23 for vector=0
v_perm_b32 v[vgprValuA_X6_I0+2], v[vgprValuA_X6_I0_D1+0], v[vgprValuA_X6_I0_D0+0], s[sgprPackKForV1] // select K=01 for vector=1
v_perm_b32 v[vgprValuA_X6_I0+3], v[vgprValuA_X6_I0_D3+0], v[vgprValuA_X6_I0_D2+0], s[sgprPackKForV1] // select K=23 for vector=1
v_mfma_f32_16x16x16_f16 a[0+0:3+0], v[vgprValuB_X2_I0+0+0+0:vgprValuB_X2_I0+0+0+0+1], v[vgprValuA_X6_I0+0+0+0:vgprValuA_X6_I0+0+0+0+1], a[0:3]
/*  mfmaIndex:65  */
/* localReadsVacancy: latencyLeft 2 */
/* pack scheduling: packAIdx:4, packBIdx:2 */
v_perm_b32 v[vgprValuA_X6_I0+4], v[vgprValuA_X6_I0_D1+1], v[vgprValuA_X6_I0_D0+1], s[sgprPackKForV0] // select K=01 for vector=0
v_perm_b32 v[vgprValuA_X6_I0+5], v[vgprValuA_X6_I0_D3+1], v[vgprValuA_X6_I0_D2+1], s[sgprPackKForV0] // select K=23 for vector=0
v_mfma_f32_16x16x16_f16 a[4+0:7+0], v[vgprValuB_X2_I0+0+0+0:vgprValuB_X2_I0+0+0+0+1], v[vgprValuA_X6_I0+2+0+0:vgprValuA_X6_I0+2+0+0+1], a[4:7]
/*  mfmaIndex:66  */
/* localReadsVacancy: latencyLeft 2 */
/* pack scheduling: packAIdx:6, packBIdx:2 */
v_perm_b32 v[vgprValuA_X6_I0+6], v[vgprValuA_X6_I0_D1+1], v[vgprValuA_X6_I0_D0+1], s[sgprPackKForV1] // select K=01 for vector=1
v_perm_b32 v[vgprValuA_X6_I0+7], v[vgprValuA_X6_I0_D3+1], v[vgprValuA_X6_I0_D2+1], s[sgprPackKForV1] // select K=23 for vector=1
v_mfma_f32_16x16x16_f16 a[8+0:11+0], v[vgprValuB_X2_I0+0+0+0:vgprValuB_X2_I0+0+0+0+1], v[vgprValuA_X6_I0+4+0+0:vgprValuA_X6_I0+4+0+0+1], a[8:11]
/*  mfmaIndex:67  */
/* localReadsVacancy: latencyLeft 2 */
/* pack scheduling: packAIdx:8, packBIdx:2 */
v_perm_b32 v[vgprValuB_X2_I0+2], v[vgprValuB_X2_I0_D1+0], v[vgprValuB_X2_I0_D0+0], s[sgprPackKForV1] // select K=01 for vector=1
v_perm_b32 v[vgprValuB_X2_I0+3], v[vgprValuB_X2_I0_D3+0], v[vgprValuB_X2_I0_D2+0], s[sgprPackKForV1] // select K=23 for vector=1
v_mfma_f32_16x16x16_f16 a[12+0:15+0], v[vgprValuB_X2_I0+0+0+0:vgprValuB_X2_I0+0+0+0+1], v[vgprValuA_X6_I0+6+0+0:vgprValuA_X6_I0+6+0+0+1], a[12:15]
/*  mfmaIndex:68  */
/* localReadsVacancy: latencyLeft 2 */
/* pack scheduling: packAIdx:8, packBIdx:4 */
v_perm_b32 v[vgprValuB_X2_I0+4], v[vgprValuB_X2_I0_D1+1], v[vgprValuB_X2_I0_D0+1], s[sgprPackKForV0] // select K=01 for vector=0
v_perm_b32 v[vgprValuB_X2_I0+5], v[vgprValuB_X2_I0_D3+1], v[vgprValuB_X2_I0_D2+1], s[sgprPackKForV0] // select K=23 for vector=0
v_mfma_f32_16x16x16_f16 a[28+0:31+0], v[vgprValuB_X2_I0+2+0+0:vgprValuB_X2_I0+2+0+0+1], v[vgprValuA_X6_I0+6+0+0:vgprValuA_X6_I0+6+0+0+1], a[28:31]
/*  mfmaIndex:69  */
/* localReadsVacancy: latencyLeft 2 */
_buffer_load_b64 v[vgprG2LA0+16:vgprG2LA0+16+1], v[vgprGlobalReadOffsetA+8], s[sgprSrdA:sgprSrdA+3], 0, offen offset:0 // G -> Reg 0_0_8_0
/* pack scheduling: packAIdx:8, packBIdx:4 */
v_perm_b32 v[vgprValuB_X2_I0+6], v[vgprValuB_X2_I0_D1+1], v[vgprValuB_X2_I0_D0+1], s[sgprPackKForV1] // select K=01 for vector=1
v_perm_b32 v[vgprValuB_X2_I0+7], v[vgprValuB_X2_I0_D3+1], v[vgprValuB_X2_I0_D2+1], s[sgprPackKForV1] // select K=23 for vector=1
v_mfma_f32_16x16x16_f16 a[24+0:27+0], v[vgprValuB_X2_I0+2+0+0:vgprValuB_X2_I0+2+0+0+1], v[vgprValuA_X6_I0+4+0+0:vgprValuA_X6_I0+4+0+0+1], a[24:27]
/*  mfmaIndex:70  */
/* localReadsVacancy: latencyLeft 2 */
/* pack scheduling: packAIdx:8, packBIdx:4 */
v_perm_b32 v[vgprValuB_X2_I0+8], v[vgprValuB_X2_I0_D1+2], v[vgprValuB_X2_I0_D0+2], s[sgprPackKForV0] // select K=01 for vector=0
v_perm_b32 v[vgprValuB_X2_I0+9], v[vgprValuB_X2_I0_D3+2], v[vgprValuB_X2_I0_D2+2], s[sgprPackKForV0] // select K=23 for vector=0
v_mfma_f32_16x16x16_f16 a[20+0:23+0], v[vgprValuB_X2_I0+2+0+0:vgprValuB_X2_I0+2+0+0+1], v[vgprValuA_X6_I0+2+0+0:vgprValuA_X6_I0+2+0+0+1], a[20:23]
/*  mfmaIndex:71  */
/* localReadsVacancy: latencyLeft 2 */
/* pack scheduling: packAIdx:8, packBIdx:4 */
v_perm_b32 v[vgprValuB_X2_I0+10], v[vgprValuB_X2_I0_D1+2], v[vgprValuB_X2_I0_D0+2], s[sgprPackKForV1] // select K=01 for vector=1
v_perm_b32 v[vgprValuB_X2_I0+11], v[vgprValuB_X2_I0_D3+2], v[vgprValuB_X2_I0_D2+2], s[sgprPackKForV1] // select K=23 for vector=1
v_mfma_f32_16x16x16_f16 a[16+0:19+0], v[vgprValuB_X2_I0+2+0+0:vgprValuB_X2_I0+2+0+0+1], v[vgprValuA_X6_I0+0+0+0:vgprValuA_X6_I0+0+0+0+1], a[16:19]
/*  mfmaIndex:72  */
/* localReadsVacancy: latencyLeft 2 */
/* pack scheduling: packAIdx:8, packBIdx:6 */
v_perm_b32 v[vgprValuB_X2_I0+12], v[vgprValuB_X2_I0_D1+3], v[vgprValuB_X2_I0_D0+3], s[sgprPackKForV0] // select K=01 for vector=0
v_perm_b32 v[vgprValuB_X2_I0+13], v[vgprValuB_X2_I0_D3+3], v[vgprValuB_X2_I0_D2+3], s[sgprPackKForV0] // select K=23 for vector=0
v_mfma_f32_16x16x16_f16 a[32+0:35+0], v[vgprValuB_X2_I0+4+0+0:vgprValuB_X2_I0+4+0+0+1], v[vgprValuA_X6_I0+0+0+0:vgprValuA_X6_I0+0+0+0+1], a[32:35]
/*  mfmaIndex:73  */
/* localReadsVacancy: latencyLeft 2 */
/* pack scheduling: packAIdx:8, packBIdx:6 */
v_perm_b32 v[vgprValuB_X2_I0+14], v[vgprValuB_X2_I0_D1+3], v[vgprValuB_X2_I0_D0+3], s[sgprPackKForV1] // select K=01 for vector=1
v_perm_b32 v[vgprValuB_X2_I0+15], v[vgprValuB_X2_I0_D3+3], v[vgprValuB_X2_I0_D2+3], s[sgprPackKForV1] // select K=23 for vector=1
v_mfma_f32_16x16x16_f16 a[36+0:39+0], v[vgprValuB_X2_I0+4+0+0:vgprValuB_X2_I0+4+0+0+1], v[vgprValuA_X6_I0+2+0+0:vgprValuA_X6_I0+2+0+0+1], a[36:39]
/*  mfmaIndex:74  */
/* localReadsVacancy: latencyLeft 2 */
_buffer_load_b64 v[vgprG2LA0+18:vgprG2LA0+18+1], v[vgprGlobalReadOffsetA+9], s[sgprSrdA:sgprSrdA+3], 0, offen offset:0 // G -> Reg 0_0_9_0
v_mfma_f32_16x16x16_f16 a[40+0:43+0], v[vgprValuB_X2_I0+4+0+0:vgprValuB_X2_I0+4+0+0+1], v[vgprValuA_X6_I0+4+0+0:vgprValuA_X6_I0+4+0+0+1], a[40:43]
/*  mfmaIndex:75  */
/* localReadsVacancy: latencyLeft 2 */
v_mfma_f32_16x16x16_f16 a[44+0:47+0], v[vgprValuB_X2_I0+4+0+0:vgprValuB_X2_I0+4+0+0+1], v[vgprValuA_X6_I0+6+0+0:vgprValuA_X6_I0+6+0+0+1], a[44:47]
/*  mfmaIndex:76  */
/* localReadsVacancy: latencyLeft 2 */
	;; [unrolled: 3-line block ×5, first 2 shown]
_buffer_load_b64 v[vgprG2LA0+20:vgprG2LA0+20+1], v[vgprGlobalReadOffsetA+10], s[sgprSrdA:sgprSrdA+3], 0, offen offset:0 // G -> Reg 0_0_10_0
v_mfma_f32_16x16x16_f16 a[48+0:51+0], v[vgprValuB_X2_I0+6+0+0:vgprValuB_X2_I0+6+0+0+1], v[vgprValuA_X6_I0+0+0+0:vgprValuA_X6_I0+0+0+0+1], a[48:51]
/*  mfmaIndex:80  */
/* localReadsVacancy: latencyLeft 2 */
v_mfma_f32_16x16x16_f16 a[64+0:67+0], v[vgprValuB_X2_I0+8+0+0:vgprValuB_X2_I0+8+0+0+1], v[vgprValuA_X6_I0+0+0+0:vgprValuA_X6_I0+0+0+0+1], a[64:67]
/*  mfmaIndex:81  */
/* localReadsVacancy: latencyLeft 2 */
	;; [unrolled: 3-line block ×5, first 2 shown]
_buffer_load_b64 v[vgprG2LA0+22:vgprG2LA0+22+1], v[vgprGlobalReadOffsetA+11], s[sgprSrdA:sgprSrdA+3], 0, offen offset:0 // G -> Reg 0_0_11_0
v_mfma_f32_16x16x16_f16 a[92+0:95+0], v[vgprValuB_X2_I0+10+0+0:vgprValuB_X2_I0+10+0+0+1], v[vgprValuA_X6_I0+6+0+0:vgprValuA_X6_I0+6+0+0+1], a[92:95]
/*  mfmaIndex:85  */
/* localReadsVacancy: latencyLeft 2 */
v_mfma_f32_16x16x16_f16 a[88+0:91+0], v[vgprValuB_X2_I0+10+0+0:vgprValuB_X2_I0+10+0+0+1], v[vgprValuA_X6_I0+4+0+0:vgprValuA_X6_I0+4+0+0+1], a[88:91]
/*  mfmaIndex:86  */
/* localReadsVacancy: latencyLeft 2 */
	;; [unrolled: 3-line block ×5, first 2 shown]
_buffer_load_b64 v[vgprG2LA0+24:vgprG2LA0+24+1], v[vgprGlobalReadOffsetA+12], s[sgprSrdA:sgprSrdA+3], 0, offen offset:0 // G -> Reg 0_0_12_0
v_mfma_f32_16x16x16_f16 a[100+0:103+0], v[vgprValuB_X2_I0+12+0+0:vgprValuB_X2_I0+12+0+0+1], v[vgprValuA_X6_I0+2+0+0:vgprValuA_X6_I0+2+0+0+1], a[100:103]
/*  mfmaIndex:90  */
/* localReadsVacancy: latencyLeft 2 */
v_mfma_f32_16x16x16_f16 a[104+0:107+0], v[vgprValuB_X2_I0+12+0+0:vgprValuB_X2_I0+12+0+0+1], v[vgprValuA_X6_I0+4+0+0:vgprValuA_X6_I0+4+0+0+1], a[104:107]
/*  mfmaIndex:91  */
/* localReadsVacancy: latencyLeft 2 */
	;; [unrolled: 3-line block ×5, first 2 shown]
_buffer_load_b64 v[vgprG2LA0+26:vgprG2LA0+26+1], v[vgprGlobalReadOffsetA+13], s[sgprSrdA:sgprSrdA+3], 0, offen offset:0 // G -> Reg 0_0_13_0
v_mfma_f32_16x16x16_f16 a[116+0:119+0], v[vgprValuB_X2_I0+14+0+0:vgprValuB_X2_I0+14+0+0+1], v[vgprValuA_X6_I0+2+0+0:vgprValuA_X6_I0+2+0+0+1], a[116:119]
/*  mfmaIndex:95  */
/* localReadsVacancy: latencyLeft 2 */

/* local read swap offsets a */

/* local read swap offsets b */

/* local read init pointers a */

/* local read init pointers b */

/* localReadInitPointers */
v_mfma_f32_16x16x16_f16 a[112+0:115+0], v[vgprValuB_X2_I0+14+0+0:vgprValuB_X2_I0+14+0+0+1], v[vgprValuA_X6_I0+0+0+0:vgprValuA_X6_I0+0+0+0+1], a[112:115]
/* numPrefetchIter=0 */
/* dataAtIterA=1 numReadsIterA=3 skipReadsIterA=1 readsPerIterA=1 */
/* dataAtIterB=1 numReadsIterB=3 skipReadsIterB=1 readsPerIterB=8 */


/* iter 3 (swap and reset local write pointers iteration)  */

s_waitcnt vmcnt(22)                                // lgkmcnt=-1 vmcnt=22global read wait for DirectToVgpr

/*  grEndMfmaIndex:108, lwStartMfmaIndex:108, lwEndMfmaIndex:108  */
/*  numMfmaForLR:13, barrierMfmaIndex:114 */
/*  mfmaIndex:96  */
s_waitcnt lgkmcnt(0)                               // lgkmcnt=0 vmcnt=-1wait for prior local read local write old=0, new=0 newLW=0 newLR=0
/* pack scheduling: packAIdx:2, packBIdx:2 */
v_perm_b32 v[vgprValuA_X7_I0+0], v[vgprValuA_X7_I0_D1+0], v[vgprValuA_X7_I0_D0+0], s[sgprPackKForV0] // select K=01 for vector=0
v_perm_b32 v[vgprValuA_X7_I0+1], v[vgprValuA_X7_I0_D3+0], v[vgprValuA_X7_I0_D2+0], s[sgprPackKForV0] // select K=23 for vector=0
v_perm_b32 v[vgprValuB_X3_I0+0], v[vgprValuB_X3_I0_D1+0], v[vgprValuB_X3_I0_D0+0], s[sgprPackKForV0] // select K=01 for vector=0
v_perm_b32 v[vgprValuB_X3_I0+1], v[vgprValuB_X3_I0_D3+0], v[vgprValuB_X3_I0_D2+0], s[sgprPackKForV0] // select K=23 for vector=0
v_perm_b32 v[vgprValuA_X7_I0+2], v[vgprValuA_X7_I0_D1+0], v[vgprValuA_X7_I0_D0+0], s[sgprPackKForV1] // select K=01 for vector=1
v_perm_b32 v[vgprValuA_X7_I0+3], v[vgprValuA_X7_I0_D3+0], v[vgprValuA_X7_I0_D2+0], s[sgprPackKForV1] // select K=23 for vector=1
v_mfma_f32_16x16x16_f16 a[0+0:3+0], v[vgprValuB_X3_I0+0+0+0:vgprValuB_X3_I0+0+0+0+1], v[vgprValuA_X7_I0+0+0+0:vgprValuA_X7_I0+0+0+0+1], a[0:3]
/*  mfmaIndex:97  */
/* pack scheduling: packAIdx:4, packBIdx:2 */
v_perm_b32 v[vgprValuA_X7_I0+4], v[vgprValuA_X7_I0_D1+1], v[vgprValuA_X7_I0_D0+1], s[sgprPackKForV0] // select K=01 for vector=0
v_perm_b32 v[vgprValuA_X7_I0+5], v[vgprValuA_X7_I0_D3+1], v[vgprValuA_X7_I0_D2+1], s[sgprPackKForV0] // select K=23 for vector=0
v_mfma_f32_16x16x16_f16 a[4+0:7+0], v[vgprValuB_X3_I0+0+0+0:vgprValuB_X3_I0+0+0+0+1], v[vgprValuA_X7_I0+2+0+0:vgprValuA_X7_I0+2+0+0+1], a[4:7]
/*  mfmaIndex:98  */
/* pack scheduling: packAIdx:6, packBIdx:2 */
v_perm_b32 v[vgprValuA_X7_I0+6], v[vgprValuA_X7_I0_D1+1], v[vgprValuA_X7_I0_D0+1], s[sgprPackKForV1] // select K=01 for vector=1
v_perm_b32 v[vgprValuA_X7_I0+7], v[vgprValuA_X7_I0_D3+1], v[vgprValuA_X7_I0_D2+1], s[sgprPackKForV1] // select K=23 for vector=1
v_mfma_f32_16x16x16_f16 a[8+0:11+0], v[vgprValuB_X3_I0+0+0+0:vgprValuB_X3_I0+0+0+0+1], v[vgprValuA_X7_I0+4+0+0:vgprValuA_X7_I0+4+0+0+1], a[8:11]
/*  mfmaIndex:99  */
_buffer_load_b64 v[vgprG2LA0+28:vgprG2LA0+28+1], v[vgprGlobalReadOffsetA+14], s[sgprSrdA:sgprSrdA+3], 0, offen offset:0 // G -> Reg 0_0_14_0
/* pack scheduling: packAIdx:8, packBIdx:2 */
v_perm_b32 v[vgprValuB_X3_I0+2], v[vgprValuB_X3_I0_D1+0], v[vgprValuB_X3_I0_D0+0], s[sgprPackKForV1] // select K=01 for vector=1
v_perm_b32 v[vgprValuB_X3_I0+3], v[vgprValuB_X3_I0_D3+0], v[vgprValuB_X3_I0_D2+0], s[sgprPackKForV1] // select K=23 for vector=1
v_mfma_f32_16x16x16_f16 a[12+0:15+0], v[vgprValuB_X3_I0+0+0+0:vgprValuB_X3_I0+0+0+0+1], v[vgprValuA_X7_I0+6+0+0:vgprValuA_X7_I0+6+0+0+1], a[12:15]
/*  mfmaIndex:100  */
/* pack scheduling: packAIdx:8, packBIdx:4 */
v_perm_b32 v[vgprValuB_X3_I0+4], v[vgprValuB_X3_I0_D1+1], v[vgprValuB_X3_I0_D0+1], s[sgprPackKForV0] // select K=01 for vector=0
v_perm_b32 v[vgprValuB_X3_I0+5], v[vgprValuB_X3_I0_D3+1], v[vgprValuB_X3_I0_D2+1], s[sgprPackKForV0] // select K=23 for vector=0
v_mfma_f32_16x16x16_f16 a[28+0:31+0], v[vgprValuB_X3_I0+2+0+0:vgprValuB_X3_I0+2+0+0+1], v[vgprValuA_X7_I0+6+0+0:vgprValuA_X7_I0+6+0+0+1], a[28:31]
/*  mfmaIndex:101  */
/* pack scheduling: packAIdx:8, packBIdx:4 */
v_perm_b32 v[vgprValuB_X3_I0+6], v[vgprValuB_X3_I0_D1+1], v[vgprValuB_X3_I0_D0+1], s[sgprPackKForV1] // select K=01 for vector=1
v_perm_b32 v[vgprValuB_X3_I0+7], v[vgprValuB_X3_I0_D3+1], v[vgprValuB_X3_I0_D2+1], s[sgprPackKForV1] // select K=23 for vector=1
v_mfma_f32_16x16x16_f16 a[24+0:27+0], v[vgprValuB_X3_I0+2+0+0:vgprValuB_X3_I0+2+0+0+1], v[vgprValuA_X7_I0+4+0+0:vgprValuA_X7_I0+4+0+0+1], a[24:27]
/*  mfmaIndex:102  */
/* pack scheduling: packAIdx:8, packBIdx:4 */
v_perm_b32 v[vgprValuB_X3_I0+8], v[vgprValuB_X3_I0_D1+2], v[vgprValuB_X3_I0_D0+2], s[sgprPackKForV0] // select K=01 for vector=0
v_perm_b32 v[vgprValuB_X3_I0+9], v[vgprValuB_X3_I0_D3+2], v[vgprValuB_X3_I0_D2+2], s[sgprPackKForV0] // select K=23 for vector=0
v_mfma_f32_16x16x16_f16 a[20+0:23+0], v[vgprValuB_X3_I0+2+0+0:vgprValuB_X3_I0+2+0+0+1], v[vgprValuA_X7_I0+2+0+0:vgprValuA_X7_I0+2+0+0+1], a[20:23]
/*  mfmaIndex:103  */
/* pack scheduling: packAIdx:8, packBIdx:4 */
v_perm_b32 v[vgprValuB_X3_I0+10], v[vgprValuB_X3_I0_D1+2], v[vgprValuB_X3_I0_D0+2], s[sgprPackKForV1] // select K=01 for vector=1
v_perm_b32 v[vgprValuB_X3_I0+11], v[vgprValuB_X3_I0_D3+2], v[vgprValuB_X3_I0_D2+2], s[sgprPackKForV1] // select K=23 for vector=1
v_mfma_f32_16x16x16_f16 a[16+0:19+0], v[vgprValuB_X3_I0+2+0+0:vgprValuB_X3_I0+2+0+0+1], v[vgprValuA_X7_I0+0+0+0:vgprValuA_X7_I0+0+0+0+1], a[16:19]
/*  mfmaIndex:104  */
_buffer_load_b64 v[vgprG2LA0+30:vgprG2LA0+30+1], v[vgprGlobalReadOffsetA+15], s[sgprSrdA:sgprSrdA+3], 0, offen offset:0 // G -> Reg 0_0_15_0
/* pack scheduling: packAIdx:8, packBIdx:6 */
v_perm_b32 v[vgprValuB_X3_I0+12], v[vgprValuB_X3_I0_D1+3], v[vgprValuB_X3_I0_D0+3], s[sgprPackKForV0] // select K=01 for vector=0
v_perm_b32 v[vgprValuB_X3_I0+13], v[vgprValuB_X3_I0_D3+3], v[vgprValuB_X3_I0_D2+3], s[sgprPackKForV0] // select K=23 for vector=0
v_mfma_f32_16x16x16_f16 a[32+0:35+0], v[vgprValuB_X3_I0+4+0+0:vgprValuB_X3_I0+4+0+0+1], v[vgprValuA_X7_I0+0+0+0:vgprValuA_X7_I0+0+0+0+1], a[32:35]
/*  mfmaIndex:105  */
/* pack scheduling: packAIdx:8, packBIdx:6 */
v_perm_b32 v[vgprValuB_X3_I0+14], v[vgprValuB_X3_I0_D1+3], v[vgprValuB_X3_I0_D0+3], s[sgprPackKForV1] // select K=01 for vector=1
v_perm_b32 v[vgprValuB_X3_I0+15], v[vgprValuB_X3_I0_D3+3], v[vgprValuB_X3_I0_D2+3], s[sgprPackKForV1] // select K=23 for vector=1
v_mfma_f32_16x16x16_f16 a[36+0:39+0], v[vgprValuB_X3_I0+4+0+0:vgprValuB_X3_I0+4+0+0+1], v[vgprValuA_X7_I0+2+0+0:vgprValuA_X7_I0+2+0+0+1], a[36:39]
/*  mfmaIndex:106  */
v_mfma_f32_16x16x16_f16 a[40+0:43+0], v[vgprValuB_X3_I0+4+0+0:vgprValuB_X3_I0+4+0+0+1], v[vgprValuA_X7_I0+4+0+0:vgprValuA_X7_I0+4+0+0+1], a[40:43]
/*  mfmaIndex:107  */
/* 1 LDS buffer: read-sync-write */
s_waitcnt lgkmcnt(0)                               // 
s_barrier                                          // 
v_mfma_f32_16x16x16_f16 a[44+0:47+0], v[vgprValuB_X3_I0+4+0+0:vgprValuB_X3_I0+4+0+0+1], v[vgprValuA_X7_I0+6+0+0:vgprValuA_X7_I0+6+0+0+1], a[44:47]
s_setprio 0                                        // store optimization
/*  mfmaIndex:108  */
/* sched write - iter 3 writesPerItem=1 */
s_waitcnt vmcnt(0)                                 // lgkmcnt=-1 vmcnt=0wait for global read before writing to local
_ds_store_b64 v[vgprLocalWriteAddrB], v[vgprG2LB+0:vgprG2LB+0+1] offset:0 // lwoB_0_0_0_0 = (0*LSCB) + (0*LSPB)(*MT1J+PAD) = 0
/* sched write - iter 3 writesPerItem=1 */
s_waitcnt vmcnt(0)                                 // lgkmcnt=-1 vmcnt=0wait for global read before writing to local
_ds_store_b64 v[vgprLocalWriteAddrB], v[vgprG2LB+2:vgprG2LB+2+1] offset:2048 // lwoB_0_0_1_0 = (0*LSCB) + (1*LSPB)(*MT1J+PAD) = 2048
/* sched write - iter 3 writesPerItem=1 */
s_waitcnt vmcnt(0)                                 // lgkmcnt=-1 vmcnt=0wait for global read before writing to local
_ds_store_b64 v[vgprLocalWriteAddrB], v[vgprG2LB+4:vgprG2LB+4+1] offset:4096 // lwoB_0_0_2_0 = (0*LSCB) + (2*LSPB)(*MT1J+PAD) = 4096
/* sched write - iter 3 writesPerItem=1 */
s_waitcnt vmcnt(0)                                 // lgkmcnt=-1 vmcnt=0wait for global read before writing to local
_ds_store_b64 v[vgprLocalWriteAddrB], v[vgprG2LB+6:vgprG2LB+6+1] offset:6144 // lwoB_0_0_3_0 = (0*LSCB) + (3*LSPB)(*MT1J+PAD) = 6144
/* sched write - iter 3 writesPerItem=1 */
s_waitcnt vmcnt(0)                                 // lgkmcnt=-1 vmcnt=0wait for global read before writing to local
_ds_store_b64 v[vgprLocalWriteAddrB], v[vgprG2LB+8:vgprG2LB+8+1] offset:8192 // lwoB_0_0_4_0 = (0*LSCB) + (4*LSPB)(*MT1J+PAD) = 8192
/* sched write - iter 3 writesPerItem=1 */
s_waitcnt vmcnt(0)                                 // lgkmcnt=-1 vmcnt=0wait for global read before writing to local
_ds_store_b64 v[vgprLocalWriteAddrB], v[vgprG2LB+10:vgprG2LB+10+1] offset:10240 // lwoB_0_0_5_0 = (0*LSCB) + (5*LSPB)(*MT1J+PAD) = 10240
/* sched write - iter 3 writesPerItem=1 */
s_waitcnt vmcnt(0)                                 // lgkmcnt=-1 vmcnt=0wait for global read before writing to local
_ds_store_b64 v[vgprLocalWriteAddrB], v[vgprG2LB+12:vgprG2LB+12+1] offset:12288 // lwoB_0_0_6_0 = (0*LSCB) + (6*LSPB)(*MT1J+PAD) = 12288
/* sched write - iter 3 writesPerItem=1 */
s_waitcnt vmcnt(0)                                 // lgkmcnt=-1 vmcnt=0wait for global read before writing to local
_ds_store_b64 v[vgprLocalWriteAddrB], v[vgprG2LB+14:vgprG2LB+14+1] offset:14336 // lwoB_0_0_7_0 = (0*LSCB) + (7*LSPB)(*MT1J+PAD) = 14336

/* local write swap offsets a */

/* local write swap offsets b */
v_mfma_f32_16x16x16_f16 a[60+0:63+0], v[vgprValuB_X3_I0+6+0+0:vgprValuB_X3_I0+6+0+0+1], v[vgprValuA_X7_I0+6+0+0:vgprValuA_X7_I0+6+0+0+1], a[60:63]
/*  mfmaIndex:109  */

/* global read inc B loopL */
s_add_u32 s[sgprSrdB+0], s[sgprSrdB+0], s[sgprGlobalReadIncsB+0] // gra SRD += inc(lower)
v_mfma_f32_16x16x16_f16 a[56+0:59+0], v[vgprValuB_X3_I0+6+0+0:vgprValuB_X3_I0+6+0+0+1], v[vgprValuA_X7_I0+4+0+0:vgprValuA_X7_I0+4+0+0+1], a[56:59]
/*  mfmaIndex:110  */
s_addc_u32  s[sgprSrdB+1], s[sgprSrdB+1], 0        // gra SRD += inc(upper)
v_mfma_f32_16x16x16_f16 a[52+0:55+0], v[vgprValuB_X3_I0+6+0+0:vgprValuB_X3_I0+6+0+0+1], v[vgprValuA_X7_I0+2+0+0:vgprValuA_X7_I0+2+0+0+1], a[52:55]
/*  mfmaIndex:111  */
s_sub_u32 s[sgprShadowLimitB+0], s[sgprShadowLimitB+0], s[sgprGlobalReadIncsB+0] // limit -= inc)
v_mfma_f32_16x16x16_f16 a[48+0:51+0], v[vgprValuB_X3_I0+6+0+0:vgprValuB_X3_I0+6+0+0+1], v[vgprValuA_X7_I0+0+0+0:vgprValuA_X7_I0+0+0+0+1], a[48:51]
/*  mfmaIndex:112  */
s_subb_u32 s[sgprShadowLimitB+1], s[sgprShadowLimitB+1], 0 // limit -= inc)
v_mfma_f32_16x16x16_f16 a[64+0:67+0], v[vgprValuB_X3_I0+8+0+0:vgprValuB_X3_I0+8+0+0+1], v[vgprValuA_X7_I0+0+0+0:vgprValuA_X7_I0+0+0+0+1], a[64:67]
/*  mfmaIndex:113  */
s_cmp_eq_u32 s[sgprShadowLimitB+1], 0              // are we within 2^32?
v_mfma_f32_16x16x16_f16 a[68+0:71+0], v[vgprValuB_X3_I0+8+0+0:vgprValuB_X3_I0+8+0+0+1], v[vgprValuA_X7_I0+2+0+0:vgprValuA_X7_I0+2+0+0+1], a[68:71]
/*  mfmaIndex:114  */
s_cmov_b32 s[sgprSrdB+2], s[sgprShadowLimitB+0]    // Move shadow to real if we are within 2^32
s_waitcnt lgkmcnt(0)                               // lgkmcnt=0 vmcnt=-13wait for local write
s_barrier
v_mfma_f32_16x16x16_f16 a[72+0:75+0], v[vgprValuB_X3_I0+8+0+0:vgprValuB_X3_I0+8+0+0+1], v[vgprValuA_X7_I0+4+0+0:vgprValuA_X7_I0+4+0+0+1], a[72:75]
/*  mfmaIndex:115  */

/* global read inc A loopL */
s_add_u32 s[sgprSrdA+0], s[sgprSrdA+0], s[sgprGlobalReadIncsA+0] // gra SRD += inc(lower)
s_setprio 3                                        // store optimization
_ds_load_b64 v[vgprValuB_X0_I0_D0+0:vgprValuB_X0_I0_D0+0+1], v[vgprLocalReadAddrB] offset:0 // L -> Reg lro=0 swapByteOffset=0 ti=64 vIdx=0 rIdx=0 oIdx=0 buffer=0 iui=0
v_mfma_f32_16x16x16_f16 a[76+0:79+0], v[vgprValuB_X3_I0+8+0+0:vgprValuB_X3_I0+8+0+0+1], v[vgprValuA_X7_I0+6+0+0:vgprValuA_X7_I0+6+0+0+1], a[76:79]
/*  mfmaIndex:116  */
s_addc_u32  s[sgprSrdA+1], s[sgprSrdA+1], 0        // gra SRD += inc(upper)
_ds_load_b64 v[vgprValuB_X0_I0_D1+0:vgprValuB_X0_I0_D1+0+1], v[vgprLocalReadAddrB] offset:256 // L -> Reg lro=0 swapByteOffset=0 ti=64 vIdx=0 rIdx=1 oIdx=0 buffer=0 iui=0
v_mfma_f32_16x16x16_f16 a[92+0:95+0], v[vgprValuB_X3_I0+10+0+0:vgprValuB_X3_I0+10+0+0+1], v[vgprValuA_X7_I0+6+0+0:vgprValuA_X7_I0+6+0+0+1], a[92:95]
/*  mfmaIndex:117  */
s_sub_u32 s[sgprShadowLimitA+0], s[sgprShadowLimitA+0], s[sgprGlobalReadIncsA+0] // limit -= inc)
_ds_load_b64 v[vgprValuB_X0_I0_D2+0:vgprValuB_X0_I0_D2+0+1], v[vgprLocalReadAddrB] offset:512 // L -> Reg lro=0 swapByteOffset=0 ti=64 vIdx=0 rIdx=2 oIdx=0 buffer=0 iui=0
v_mfma_f32_16x16x16_f16 a[88+0:91+0], v[vgprValuB_X3_I0+10+0+0:vgprValuB_X3_I0+10+0+0+1], v[vgprValuA_X7_I0+4+0+0:vgprValuA_X7_I0+4+0+0+1], a[88:91]
/*  mfmaIndex:118  */
s_subb_u32 s[sgprShadowLimitA+1], s[sgprShadowLimitA+1], 0 // limit -= inc)
_ds_load_b64 v[vgprValuB_X0_I0_D3+0:vgprValuB_X0_I0_D3+0+1], v[vgprLocalReadAddrB] offset:768 // L -> Reg lro=0 swapByteOffset=0 ti=64 vIdx=0 rIdx=3 oIdx=0 buffer=0 iui=0
v_mfma_f32_16x16x16_f16 a[84+0:87+0], v[vgprValuB_X3_I0+10+0+0:vgprValuB_X3_I0+10+0+0+1], v[vgprValuA_X7_I0+2+0+0:vgprValuA_X7_I0+2+0+0+1], a[84:87]
/*  mfmaIndex:119  */
s_cmp_eq_u32 s[sgprShadowLimitA+1], 0              // are we within 2^32?
_ds_load_b64 v[vgprValuB_X0_I0_D0+2:vgprValuB_X0_I0_D0+2+1], v[vgprLocalReadAddrB] offset:128 // L -> Reg lro=0 swapByteOffset=0 ti=64 vIdx=1 rIdx=0 oIdx=0 buffer=0 iui=0
v_mfma_f32_16x16x16_f16 a[80+0:83+0], v[vgprValuB_X3_I0+10+0+0:vgprValuB_X3_I0+10+0+0+1], v[vgprValuA_X7_I0+0+0+0:vgprValuA_X7_I0+0+0+0+1], a[80:83]
/*  mfmaIndex:120  */
s_cmov_b32 s[sgprSrdA+2], s[sgprShadowLimitA+0]    // Move shadow to real if we are within 2^32
_ds_load_b64 v[vgprValuB_X0_I0_D1+2:vgprValuB_X0_I0_D1+2+1], v[vgprLocalReadAddrB] offset:384 // L -> Reg lro=0 swapByteOffset=0 ti=64 vIdx=1 rIdx=1 oIdx=0 buffer=0 iui=0
v_mfma_f32_16x16x16_f16 a[96+0:99+0], v[vgprValuB_X3_I0+12+0+0:vgprValuB_X3_I0+12+0+0+1], v[vgprValuA_X7_I0+0+0+0:vgprValuA_X7_I0+0+0+0+1], a[96:99]
/*  mfmaIndex:121  */
_ds_load_b64 v[vgprValuB_X0_I0_D2+2:vgprValuB_X0_I0_D2+2+1], v[vgprLocalReadAddrB] offset:640 // L -> Reg lro=0 swapByteOffset=0 ti=64 vIdx=1 rIdx=2 oIdx=0 buffer=0 iui=0
v_mfma_f32_16x16x16_f16 a[100+0:103+0], v[vgprValuB_X3_I0+12+0+0:vgprValuB_X3_I0+12+0+0+1], v[vgprValuA_X7_I0+2+0+0:vgprValuA_X7_I0+2+0+0+1], a[100:103]
/*  mfmaIndex:122  */
_ds_load_b64 v[vgprValuB_X0_I0_D3+2:vgprValuB_X0_I0_D3+2+1], v[vgprLocalReadAddrB] offset:896 // L -> Reg lro=0 swapByteOffset=0 ti=64 vIdx=1 rIdx=3 oIdx=0 buffer=0 iui=0
v_mfma_f32_16x16x16_f16 a[104+0:107+0], v[vgprValuB_X3_I0+12+0+0:vgprValuB_X3_I0+12+0+0+1], v[vgprValuA_X7_I0+4+0+0:vgprValuA_X7_I0+4+0+0+1], a[104:107]
/*  mfmaIndex:123  */
v_mfma_f32_16x16x16_f16 a[108+0:111+0], v[vgprValuB_X3_I0+12+0+0:vgprValuB_X3_I0+12+0+0+1], v[vgprValuA_X7_I0+6+0+0:vgprValuA_X7_I0+6+0+0+1], a[108:111]
/*  mfmaIndex:124  */
	;; [unrolled: 2-line block ×5, first 2 shown]
v_mfma_f32_16x16x16_f16 a[112+0:115+0], v[vgprValuB_X3_I0+14+0+0:vgprValuB_X3_I0+14+0+0+1], v[vgprValuA_X7_I0+0+0+0:vgprValuA_X7_I0+0+0+0+1], a[112:115]
s_setprio 0                                        // store optimization
/* numPrefetchIter=1 */
/* dataAtIterA=2 numReadsIterA=3 skipReadsIterA=1 readsPerIterA=1 */
/* dataAtIterB=2 numReadsIterB=3 skipReadsIterB=1 readsPerIterB=8 */


/******************************************/
/* Unrolled Loop - End 2/2 (final)        */
/******************************************/


/* closeLoop loopL finalLoop=1 tailLoop=0 */
s_sub_u32 s[sgprLoopCounterL], s[sgprLoopCounterL], 1 // dec counterL
s_cmp_eq_i32 s[sgprLoopCounterL], 0x1              // counterL==1
s_cbranch_scc0 LoopBeginL_1                        // restart LoopL
LoopEndL_evenexit_4: // unroll loop eveniter exit
s_branch LoopEndL_2                                // exit unroll loopL (and skip second exit code)
LoopEndL_oddexit_3: // unroll loop odditer exit

/* Select high bank of LDS */
LoopEndL_2:


/* Before NLL: Check VGPR.checkin for INT8 LW */


/******************************************/
/* Opt. NoLoadLoop Without PAP - Begin                                      */
/******************************************/

s_cmpk_eq_u32 s[sgprBeta], 0x0                     // Beta == 0
s_cbranch_scc0 OptNLL_End_15                       // Branch if Beta is not zero

s_cmp_eq_u32 s[sgprAlpha], 1.0                     // Alpha == 1.0 ?
s_cbranch_scc0 OptNLL_End_15                       // branch if alpha != 1

s_and_b32 s56, 255, s[sgprSizeI]                   // s56 = s[sgprSizeI] % 256
s_add_u32 s57, -0x1, s[sgprNumWorkGroups0]         // 
s_cmp_ge_u32 s[sgprWorkGroup0], s57                // wg0 >= nwg0-1 ?
s_cselect_b32 s56, s56, 0                          // set rMT0
s_cmpk_gt_u32 s56, 0x0                             // rMT0 > 0
s_cbranch_scc1 OptNLL_End_15                       // jump if edges required
s_and_b32 s56, 127, s[sgprSizeJ]                   // s56 = s[sgprSizeJ] % 128
s_add_u32 s57, -0x1, s[sgprNumWorkGroups1]         // 
s_cmp_ge_u32 s[sgprWorkGroup1], s57                // wg1 >= nwg1-1
s_cselect_b32 s56, s56, 0                          // set rMT1
s_cmpk_gt_u32 s56, 0x0                             // rMT1 > 0
s_cbranch_scc1 OptNLL_End_15                       // jump if edges required


s_and_b32 s33, s[sgprOrigLoopCounter], 1           // test if OrigLoopCounter is Odd ?
s_cbranch_scc0 label_0016                          // Skip odd code if OrigLoopCounter is Even


	;; [unrolled: 1-line block ×3, first 2 shown]
/* iter 0 (last unrolled loop) */

s_waitcnt vmcnt(12)                                // lgkmcnt=-1 vmcnt=12global read wait for DirectToVgpr

/*  grEndMfmaIndex:0, lwStartMfmaIndex:108, lwEndMfmaIndex:108  */
/*  numMfmaForLR:13, barrierMfmaIndex:114 */
/*  mfmaIndex:0  */
s_waitcnt lgkmcnt(0)                               // lgkmcnt=0 vmcnt=-1wait for prior local read local write old=0, new=0 newLW=0 newLR=0
/* pack scheduling: packAIdx:2, packBIdx:2 */
v_perm_b32 v[vgprValuA_X0_I0+0], v[vgprValuA_X0_I0_D1+0], v[vgprValuA_X0_I0_D0+0], s[sgprPackKForV0] // select K=01 for vector=0
v_perm_b32 v[vgprValuA_X0_I0+1], v[vgprValuA_X0_I0_D3+0], v[vgprValuA_X0_I0_D2+0], s[sgprPackKForV0] // select K=23 for vector=0
v_perm_b32 v[vgprValuB_X0_I0+0], v[vgprValuB_X0_I0_D1+0], v[vgprValuB_X0_I0_D0+0], s[sgprPackKForV0] // select K=01 for vector=0
v_perm_b32 v[vgprValuB_X0_I0+1], v[vgprValuB_X0_I0_D3+0], v[vgprValuB_X0_I0_D2+0], s[sgprPackKForV0] // select K=23 for vector=0
v_perm_b32 v[vgprValuA_X0_I0+2], v[vgprValuA_X0_I0_D1+0], v[vgprValuA_X0_I0_D0+0], s[sgprPackKForV1] // select K=01 for vector=1
v_perm_b32 v[vgprValuA_X0_I0+3], v[vgprValuA_X0_I0_D3+0], v[vgprValuA_X0_I0_D2+0], s[sgprPackKForV1] // select K=23 for vector=1
v_mfma_f32_16x16x16_f16 a[0+0:3+0], v[vgprValuB_X0_I0+0+0+0:vgprValuB_X0_I0+0+0+0+1], v[vgprValuA_X0_I0+0+0+0:vgprValuA_X0_I0+0+0+0+1], a[0:3]
/*  mfmaIndex:1  */
_ds_load_b64 v[vgprValuB_X1_I0_D0+0:vgprValuB_X1_I0_D0+0+1], v[vgprLocalReadAddrB] offset:4096 // L -> Reg lro=2048 swapByteOffset=0 ti=64 vIdx=0 rIdx=0 oIdx=0 buffer=1 iui=0
s_setprio 3                                        // store optimization
/* pack scheduling: packAIdx:4, packBIdx:2 */
v_perm_b32 v[vgprValuA_X0_I0+4], v[vgprValuA_X0_I0_D1+1], v[vgprValuA_X0_I0_D0+1], s[sgprPackKForV0] // select K=01 for vector=0
v_perm_b32 v[vgprValuA_X0_I0+5], v[vgprValuA_X0_I0_D3+1], v[vgprValuA_X0_I0_D2+1], s[sgprPackKForV0] // select K=23 for vector=0
v_mfma_f32_16x16x16_f16 a[4+0:7+0], v[vgprValuB_X0_I0+0+0+0:vgprValuB_X0_I0+0+0+0+1], v[vgprValuA_X0_I0+2+0+0:vgprValuA_X0_I0+2+0+0+1], a[4:7]
/*  mfmaIndex:2  */
_ds_load_b64 v[vgprValuB_X1_I0_D1+0:vgprValuB_X1_I0_D1+0+1], v[vgprLocalReadAddrB] offset:4352 // L -> Reg lro=2048 swapByteOffset=0 ti=64 vIdx=0 rIdx=1 oIdx=0 buffer=1 iui=0
/* pack scheduling: packAIdx:6, packBIdx:2 */
v_perm_b32 v[vgprValuA_X0_I0+6], v[vgprValuA_X0_I0_D1+1], v[vgprValuA_X0_I0_D0+1], s[sgprPackKForV1] // select K=01 for vector=1
v_perm_b32 v[vgprValuA_X0_I0+7], v[vgprValuA_X0_I0_D3+1], v[vgprValuA_X0_I0_D2+1], s[sgprPackKForV1] // select K=23 for vector=1
v_mfma_f32_16x16x16_f16 a[8+0:11+0], v[vgprValuB_X0_I0+0+0+0:vgprValuB_X0_I0+0+0+0+1], v[vgprValuA_X0_I0+4+0+0:vgprValuA_X0_I0+4+0+0+1], a[8:11]
/*  mfmaIndex:3  */
_ds_load_b64 v[vgprValuB_X1_I0_D2+0:vgprValuB_X1_I0_D2+0+1], v[vgprLocalReadAddrB] offset:4608 // L -> Reg lro=2048 swapByteOffset=0 ti=64 vIdx=0 rIdx=2 oIdx=0 buffer=1 iui=0
/* pack scheduling: packAIdx:8, packBIdx:2 */
v_perm_b32 v[vgprValuB_X0_I0+2], v[vgprValuB_X0_I0_D1+0], v[vgprValuB_X0_I0_D0+0], s[sgprPackKForV1] // select K=01 for vector=1
v_perm_b32 v[vgprValuB_X0_I0+3], v[vgprValuB_X0_I0_D3+0], v[vgprValuB_X0_I0_D2+0], s[sgprPackKForV1] // select K=23 for vector=1
v_mfma_f32_16x16x16_f16 a[12+0:15+0], v[vgprValuB_X0_I0+0+0+0:vgprValuB_X0_I0+0+0+0+1], v[vgprValuA_X0_I0+6+0+0:vgprValuA_X0_I0+6+0+0+1], a[12:15]
/*  mfmaIndex:4  */
_ds_load_b64 v[vgprValuB_X1_I0_D3+0:vgprValuB_X1_I0_D3+0+1], v[vgprLocalReadAddrB] offset:4864 // L -> Reg lro=2048 swapByteOffset=0 ti=64 vIdx=0 rIdx=3 oIdx=0 buffer=1 iui=0
/* pack scheduling: packAIdx:8, packBIdx:4 */
v_perm_b32 v[vgprValuB_X0_I0+4], v[vgprValuB_X0_I0_D1+1], v[vgprValuB_X0_I0_D0+1], s[sgprPackKForV0] // select K=01 for vector=0
v_perm_b32 v[vgprValuB_X0_I0+5], v[vgprValuB_X0_I0_D3+1], v[vgprValuB_X0_I0_D2+1], s[sgprPackKForV0] // select K=23 for vector=0
v_mfma_f32_16x16x16_f16 a[28+0:31+0], v[vgprValuB_X0_I0+2+0+0:vgprValuB_X0_I0+2+0+0+1], v[vgprValuA_X0_I0+6+0+0:vgprValuA_X0_I0+6+0+0+1], a[28:31]
/*  mfmaIndex:5  */
_ds_load_b64 v[vgprValuB_X1_I0_D0+2:vgprValuB_X1_I0_D0+2+1], v[vgprLocalReadAddrB] offset:4224 // L -> Reg lro=2048 swapByteOffset=0 ti=64 vIdx=1 rIdx=0 oIdx=0 buffer=1 iui=0
/* pack scheduling: packAIdx:8, packBIdx:4 */
v_perm_b32 v[vgprValuB_X0_I0+6], v[vgprValuB_X0_I0_D1+1], v[vgprValuB_X0_I0_D0+1], s[sgprPackKForV1] // select K=01 for vector=1
v_perm_b32 v[vgprValuB_X0_I0+7], v[vgprValuB_X0_I0_D3+1], v[vgprValuB_X0_I0_D2+1], s[sgprPackKForV1] // select K=23 for vector=1
v_mfma_f32_16x16x16_f16 a[24+0:27+0], v[vgprValuB_X0_I0+2+0+0:vgprValuB_X0_I0+2+0+0+1], v[vgprValuA_X0_I0+4+0+0:vgprValuA_X0_I0+4+0+0+1], a[24:27]
/*  mfmaIndex:6  */
_ds_load_b64 v[vgprValuB_X1_I0_D1+2:vgprValuB_X1_I0_D1+2+1], v[vgprLocalReadAddrB] offset:4480 // L -> Reg lro=2048 swapByteOffset=0 ti=64 vIdx=1 rIdx=1 oIdx=0 buffer=1 iui=0
/* pack scheduling: packAIdx:8, packBIdx:4 */
v_perm_b32 v[vgprValuB_X0_I0+8], v[vgprValuB_X0_I0_D1+2], v[vgprValuB_X0_I0_D0+2], s[sgprPackKForV0] // select K=01 for vector=0
v_perm_b32 v[vgprValuB_X0_I0+9], v[vgprValuB_X0_I0_D3+2], v[vgprValuB_X0_I0_D2+2], s[sgprPackKForV0] // select K=23 for vector=0
v_mfma_f32_16x16x16_f16 a[20+0:23+0], v[vgprValuB_X0_I0+2+0+0:vgprValuB_X0_I0+2+0+0+1], v[vgprValuA_X0_I0+2+0+0:vgprValuA_X0_I0+2+0+0+1], a[20:23]
/*  mfmaIndex:7  */
_ds_load_b64 v[vgprValuB_X1_I0_D2+2:vgprValuB_X1_I0_D2+2+1], v[vgprLocalReadAddrB] offset:4736 // L -> Reg lro=2048 swapByteOffset=0 ti=64 vIdx=1 rIdx=2 oIdx=0 buffer=1 iui=0
/* pack scheduling: packAIdx:8, packBIdx:4 */
v_perm_b32 v[vgprValuB_X0_I0+10], v[vgprValuB_X0_I0_D1+2], v[vgprValuB_X0_I0_D0+2], s[sgprPackKForV1] // select K=01 for vector=1
v_perm_b32 v[vgprValuB_X0_I0+11], v[vgprValuB_X0_I0_D3+2], v[vgprValuB_X0_I0_D2+2], s[sgprPackKForV1] // select K=23 for vector=1
v_mfma_f32_16x16x16_f16 a[16+0:19+0], v[vgprValuB_X0_I0+2+0+0:vgprValuB_X0_I0+2+0+0+1], v[vgprValuA_X0_I0+0+0+0:vgprValuA_X0_I0+0+0+0+1], a[16:19]
/*  mfmaIndex:8  */
_ds_load_b64 v[vgprValuB_X1_I0_D3+2:vgprValuB_X1_I0_D3+2+1], v[vgprLocalReadAddrB] offset:4992 // L -> Reg lro=2048 swapByteOffset=0 ti=64 vIdx=1 rIdx=3 oIdx=0 buffer=1 iui=0
/* pack scheduling: packAIdx:8, packBIdx:6 */
v_perm_b32 v[vgprValuB_X0_I0+12], v[vgprValuB_X0_I0_D1+3], v[vgprValuB_X0_I0_D0+3], s[sgprPackKForV0] // select K=01 for vector=0
v_perm_b32 v[vgprValuB_X0_I0+13], v[vgprValuB_X0_I0_D3+3], v[vgprValuB_X0_I0_D2+3], s[sgprPackKForV0] // select K=23 for vector=0
v_mfma_f32_16x16x16_f16 a[32+0:35+0], v[vgprValuB_X0_I0+4+0+0:vgprValuB_X0_I0+4+0+0+1], v[vgprValuA_X0_I0+0+0+0:vgprValuA_X0_I0+0+0+0+1], a[32:35]
/*  mfmaIndex:9  */
/* localReadsVacancy: latencyLeft 2 */
_ds_load_b64 v[vgprValuB_X2_I0_D0+0:vgprValuB_X2_I0_D0+0+1], v[vgprLocalReadAddrB] offset:8192 // L -> Reg lro=4096 swapByteOffset=0 ti=64 vIdx=0 rIdx=0 oIdx=0 buffer=2 iui=0
/* pack scheduling: packAIdx:8, packBIdx:6 */
v_perm_b32 v[vgprValuB_X0_I0+14], v[vgprValuB_X0_I0_D1+3], v[vgprValuB_X0_I0_D0+3], s[sgprPackKForV1] // select K=01 for vector=1
v_perm_b32 v[vgprValuB_X0_I0+15], v[vgprValuB_X0_I0_D3+3], v[vgprValuB_X0_I0_D2+3], s[sgprPackKForV1] // select K=23 for vector=1
v_mfma_f32_16x16x16_f16 a[36+0:39+0], v[vgprValuB_X0_I0+4+0+0:vgprValuB_X0_I0+4+0+0+1], v[vgprValuA_X0_I0+2+0+0:vgprValuA_X0_I0+2+0+0+1], a[36:39]
/*  mfmaIndex:10  */
/* localReadsVacancy: latencyLeft 2 */
_ds_load_b64 v[vgprValuB_X2_I0_D1+0:vgprValuB_X2_I0_D1+0+1], v[vgprLocalReadAddrB] offset:8448 // L -> Reg lro=4096 swapByteOffset=0 ti=64 vIdx=0 rIdx=1 oIdx=0 buffer=2 iui=0
v_mfma_f32_16x16x16_f16 a[40+0:43+0], v[vgprValuB_X0_I0+4+0+0:vgprValuB_X0_I0+4+0+0+1], v[vgprValuA_X0_I0+4+0+0:vgprValuA_X0_I0+4+0+0+1], a[40:43]
/*  mfmaIndex:11  */
/* localReadsVacancy: latencyLeft 2 */
_ds_load_b64 v[vgprValuB_X2_I0_D2+0:vgprValuB_X2_I0_D2+0+1], v[vgprLocalReadAddrB] offset:8704 // L -> Reg lro=4096 swapByteOffset=0 ti=64 vIdx=0 rIdx=2 oIdx=0 buffer=2 iui=0
v_mfma_f32_16x16x16_f16 a[44+0:47+0], v[vgprValuB_X0_I0+4+0+0:vgprValuB_X0_I0+4+0+0+1], v[vgprValuA_X0_I0+6+0+0:vgprValuA_X0_I0+6+0+0+1], a[44:47]
/*  mfmaIndex:12  */
/* localReadsVacancy: latencyLeft 2 */
_ds_load_b64 v[vgprValuB_X2_I0_D3+0:vgprValuB_X2_I0_D3+0+1], v[vgprLocalReadAddrB] offset:8960 // L -> Reg lro=4096 swapByteOffset=0 ti=64 vIdx=0 rIdx=3 oIdx=0 buffer=2 iui=0
v_mfma_f32_16x16x16_f16 a[60+0:63+0], v[vgprValuB_X0_I0+6+0+0:vgprValuB_X0_I0+6+0+0+1], v[vgprValuA_X0_I0+6+0+0:vgprValuA_X0_I0+6+0+0+1], a[60:63]
/*  mfmaIndex:13  */
/* localReadsVacancy: latencyLeft 2 */
_ds_load_b64 v[vgprValuB_X2_I0_D0+2:vgprValuB_X2_I0_D0+2+1], v[vgprLocalReadAddrB] offset:8320 // L -> Reg lro=4096 swapByteOffset=0 ti=64 vIdx=1 rIdx=0 oIdx=0 buffer=2 iui=0
v_mfma_f32_16x16x16_f16 a[56+0:59+0], v[vgprValuB_X0_I0+6+0+0:vgprValuB_X0_I0+6+0+0+1], v[vgprValuA_X0_I0+4+0+0:vgprValuA_X0_I0+4+0+0+1], a[56:59]
/*  mfmaIndex:14  */
/* localReadsVacancy: latencyLeft 2 */
_ds_load_b64 v[vgprValuB_X2_I0_D1+2:vgprValuB_X2_I0_D1+2+1], v[vgprLocalReadAddrB] offset:8576 // L -> Reg lro=4096 swapByteOffset=0 ti=64 vIdx=1 rIdx=1 oIdx=0 buffer=2 iui=0
v_mfma_f32_16x16x16_f16 a[52+0:55+0], v[vgprValuB_X0_I0+6+0+0:vgprValuB_X0_I0+6+0+0+1], v[vgprValuA_X0_I0+2+0+0:vgprValuA_X0_I0+2+0+0+1], a[52:55]
/*  mfmaIndex:15  */
/* localReadsVacancy: latencyLeft 2 */
_ds_load_b64 v[vgprValuB_X2_I0_D2+2:vgprValuB_X2_I0_D2+2+1], v[vgprLocalReadAddrB] offset:8832 // L -> Reg lro=4096 swapByteOffset=0 ti=64 vIdx=1 rIdx=2 oIdx=0 buffer=2 iui=0
v_mfma_f32_16x16x16_f16 a[48+0:51+0], v[vgprValuB_X0_I0+6+0+0:vgprValuB_X0_I0+6+0+0+1], v[vgprValuA_X0_I0+0+0+0:vgprValuA_X0_I0+0+0+0+1], a[48:51]
/*  mfmaIndex:16  */
/* localReadsVacancy: latencyLeft 2 */
_ds_load_b64 v[vgprValuB_X2_I0_D3+2:vgprValuB_X2_I0_D3+2+1], v[vgprLocalReadAddrB] offset:9088 // L -> Reg lro=4096 swapByteOffset=0 ti=64 vIdx=1 rIdx=3 oIdx=0 buffer=2 iui=0
v_mfma_f32_16x16x16_f16 a[64+0:67+0], v[vgprValuB_X0_I0+8+0+0:vgprValuB_X0_I0+8+0+0+1], v[vgprValuA_X0_I0+0+0+0:vgprValuA_X0_I0+0+0+0+1], a[64:67]
/*  mfmaIndex:17  */
/* localReadsVacancy: latencyLeft 2 */
_ds_load_b64 v[vgprValuB_X3_I0_D0+0:vgprValuB_X3_I0_D0+0+1], v[vgprLocalReadAddrB] offset:12288 // L -> Reg lro=6144 swapByteOffset=0 ti=64 vIdx=0 rIdx=0 oIdx=0 buffer=3 iui=0
v_mfma_f32_16x16x16_f16 a[68+0:71+0], v[vgprValuB_X0_I0+8+0+0:vgprValuB_X0_I0+8+0+0+1], v[vgprValuA_X0_I0+2+0+0:vgprValuA_X0_I0+2+0+0+1], a[68:71]
/*  mfmaIndex:18  */
/* localReadsVacancy: latencyLeft 2 */
_ds_load_b64 v[vgprValuB_X3_I0_D1+0:vgprValuB_X3_I0_D1+0+1], v[vgprLocalReadAddrB] offset:12544 // L -> Reg lro=6144 swapByteOffset=0 ti=64 vIdx=0 rIdx=1 oIdx=0 buffer=3 iui=0
v_mfma_f32_16x16x16_f16 a[72+0:75+0], v[vgprValuB_X0_I0+8+0+0:vgprValuB_X0_I0+8+0+0+1], v[vgprValuA_X0_I0+4+0+0:vgprValuA_X0_I0+4+0+0+1], a[72:75]
/*  mfmaIndex:19  */
/* localReadsVacancy: latencyLeft 2 */
_ds_load_b64 v[vgprValuB_X3_I0_D2+0:vgprValuB_X3_I0_D2+0+1], v[vgprLocalReadAddrB] offset:12800 // L -> Reg lro=6144 swapByteOffset=0 ti=64 vIdx=0 rIdx=2 oIdx=0 buffer=3 iui=0
v_mfma_f32_16x16x16_f16 a[76+0:79+0], v[vgprValuB_X0_I0+8+0+0:vgprValuB_X0_I0+8+0+0+1], v[vgprValuA_X0_I0+6+0+0:vgprValuA_X0_I0+6+0+0+1], a[76:79]
/*  mfmaIndex:20  */
/* localReadsVacancy: latencyLeft 2 */
_ds_load_b64 v[vgprValuB_X3_I0_D3+0:vgprValuB_X3_I0_D3+0+1], v[vgprLocalReadAddrB] offset:13056 // L -> Reg lro=6144 swapByteOffset=0 ti=64 vIdx=0 rIdx=3 oIdx=0 buffer=3 iui=0
v_mfma_f32_16x16x16_f16 a[92+0:95+0], v[vgprValuB_X0_I0+10+0+0:vgprValuB_X0_I0+10+0+0+1], v[vgprValuA_X0_I0+6+0+0:vgprValuA_X0_I0+6+0+0+1], a[92:95]
/*  mfmaIndex:21  */
/* localReadsVacancy: latencyLeft 2 */
_ds_load_b64 v[vgprValuB_X3_I0_D0+2:vgprValuB_X3_I0_D0+2+1], v[vgprLocalReadAddrB] offset:12416 // L -> Reg lro=6144 swapByteOffset=0 ti=64 vIdx=1 rIdx=0 oIdx=0 buffer=3 iui=0
v_mfma_f32_16x16x16_f16 a[88+0:91+0], v[vgprValuB_X0_I0+10+0+0:vgprValuB_X0_I0+10+0+0+1], v[vgprValuA_X0_I0+4+0+0:vgprValuA_X0_I0+4+0+0+1], a[88:91]
/*  mfmaIndex:22  */
/* localReadsVacancy: latencyLeft 2 */
_ds_load_b64 v[vgprValuB_X3_I0_D1+2:vgprValuB_X3_I0_D1+2+1], v[vgprLocalReadAddrB] offset:12672 // L -> Reg lro=6144 swapByteOffset=0 ti=64 vIdx=1 rIdx=1 oIdx=0 buffer=3 iui=0
v_mfma_f32_16x16x16_f16 a[84+0:87+0], v[vgprValuB_X0_I0+10+0+0:vgprValuB_X0_I0+10+0+0+1], v[vgprValuA_X0_I0+2+0+0:vgprValuA_X0_I0+2+0+0+1], a[84:87]
/*  mfmaIndex:23  */
/* localReadsVacancy: latencyLeft 2 */
_ds_load_b64 v[vgprValuB_X3_I0_D2+2:vgprValuB_X3_I0_D2+2+1], v[vgprLocalReadAddrB] offset:12928 // L -> Reg lro=6144 swapByteOffset=0 ti=64 vIdx=1 rIdx=2 oIdx=0 buffer=3 iui=0
v_mfma_f32_16x16x16_f16 a[80+0:83+0], v[vgprValuB_X0_I0+10+0+0:vgprValuB_X0_I0+10+0+0+1], v[vgprValuA_X0_I0+0+0+0:vgprValuA_X0_I0+0+0+0+1], a[80:83]
/*  mfmaIndex:24  */
/* localReadsVacancy: latencyLeft 2 */
_ds_load_b64 v[vgprValuB_X3_I0_D3+2:vgprValuB_X3_I0_D3+2+1], v[vgprLocalReadAddrB] offset:13184 // L -> Reg lro=6144 swapByteOffset=0 ti=64 vIdx=1 rIdx=3 oIdx=0 buffer=3 iui=0
v_mfma_f32_16x16x16_f16 a[96+0:99+0], v[vgprValuB_X0_I0+12+0+0:vgprValuB_X0_I0+12+0+0+1], v[vgprValuA_X0_I0+0+0+0:vgprValuA_X0_I0+0+0+0+1], a[96:99]
/*  mfmaIndex:25  */
/* localReadsVacancy: latencyLeft 2 */
v_mfma_f32_16x16x16_f16 a[100+0:103+0], v[vgprValuB_X0_I0+12+0+0:vgprValuB_X0_I0+12+0+0+1], v[vgprValuA_X0_I0+2+0+0:vgprValuA_X0_I0+2+0+0+1], a[100:103]
/*  mfmaIndex:26  */
/* localReadsVacancy: latencyLeft 2 */
v_mfma_f32_16x16x16_f16 a[104+0:107+0], v[vgprValuB_X0_I0+12+0+0:vgprValuB_X0_I0+12+0+0+1], v[vgprValuA_X0_I0+4+0+0:vgprValuA_X0_I0+4+0+0+1], a[104:107]
/*  mfmaIndex:27  */
/* localReadsVacancy: latencyLeft 2 */
v_mfma_f32_16x16x16_f16 a[108+0:111+0], v[vgprValuB_X0_I0+12+0+0:vgprValuB_X0_I0+12+0+0+1], v[vgprValuA_X0_I0+6+0+0:vgprValuA_X0_I0+6+0+0+1], a[108:111]
/*  mfmaIndex:28  */
/* localReadsVacancy: latencyLeft 2 */
v_mfma_f32_16x16x16_f16 a[124+0:127+0], v[vgprValuB_X0_I0+14+0+0:vgprValuB_X0_I0+14+0+0+1], v[vgprValuA_X0_I0+6+0+0:vgprValuA_X0_I0+6+0+0+1], a[124:127]
/*  mfmaIndex:29  */
/* localReadsVacancy: latencyLeft 2 */
v_mfma_f32_16x16x16_f16 a[120+0:123+0], v[vgprValuB_X0_I0+14+0+0:vgprValuB_X0_I0+14+0+0+1], v[vgprValuA_X0_I0+4+0+0:vgprValuA_X0_I0+4+0+0+1], a[120:123]
/*  mfmaIndex:30  */
/* localReadsVacancy: latencyLeft 2 */
v_mfma_f32_16x16x16_f16 a[116+0:119+0], v[vgprValuB_X0_I0+14+0+0:vgprValuB_X0_I0+14+0+0+1], v[vgprValuA_X0_I0+2+0+0:vgprValuA_X0_I0+2+0+0+1], a[116:119]
/*  mfmaIndex:31  */
/* localReadsVacancy: latencyLeft 2 */
v_mfma_f32_16x16x16_f16 a[112+0:115+0], v[vgprValuB_X0_I0+14+0+0:vgprValuB_X0_I0+14+0+0+1], v[vgprValuA_X0_I0+0+0+0:vgprValuA_X0_I0+0+0+0+1], a[112:115]
/* numPrefetchIter=0 */
/* dataAtIterA=-1 numReadsIterA=1 skipReadsIterA=1 readsPerIterA=1 */
/* dataAtIterB=-1 numReadsIterB=1 skipReadsIterB=1 readsPerIterB=8 */


/* iter 1 (last unrolled loop) */

s_waitcnt vmcnt(8)                                 // lgkmcnt=-1 vmcnt=8global read wait for DirectToVgpr

/*  grEndMfmaIndex:0, lwStartMfmaIndex:108, lwEndMfmaIndex:108  */
/*  numMfmaForLR:13, barrierMfmaIndex:114 */
/*  mfmaIndex:32  */
/* localReadsVacancy: latencyLeft 2 */
s_waitcnt lgkmcnt(15)                              // lgkmcnt=0 vmcnt=-1wait for prior local read local write old=8, new=8 newLW=0 newLR=0
/* pack scheduling: packAIdx:2, packBIdx:2 */
v_perm_b32 v[vgprValuA_X1_I0+0], v[vgprValuA_X1_I0_D1+0], v[vgprValuA_X1_I0_D0+0], s[sgprPackKForV0] // select K=01 for vector=0
v_perm_b32 v[vgprValuA_X1_I0+1], v[vgprValuA_X1_I0_D3+0], v[vgprValuA_X1_I0_D2+0], s[sgprPackKForV0] // select K=23 for vector=0
v_perm_b32 v[vgprValuB_X1_I0+0], v[vgprValuB_X1_I0_D1+0], v[vgprValuB_X1_I0_D0+0], s[sgprPackKForV0] // select K=01 for vector=0
v_perm_b32 v[vgprValuB_X1_I0+1], v[vgprValuB_X1_I0_D3+0], v[vgprValuB_X1_I0_D2+0], s[sgprPackKForV0] // select K=23 for vector=0
v_perm_b32 v[vgprValuA_X1_I0+2], v[vgprValuA_X1_I0_D1+0], v[vgprValuA_X1_I0_D0+0], s[sgprPackKForV1] // select K=01 for vector=1
v_perm_b32 v[vgprValuA_X1_I0+3], v[vgprValuA_X1_I0_D3+0], v[vgprValuA_X1_I0_D2+0], s[sgprPackKForV1] // select K=23 for vector=1
v_mfma_f32_16x16x16_f16 a[0+0:3+0], v[vgprValuB_X1_I0+0+0+0:vgprValuB_X1_I0+0+0+0+1], v[vgprValuA_X1_I0+0+0+0:vgprValuA_X1_I0+0+0+0+1], a[0:3]
/*  mfmaIndex:33  */
/* localReadsVacancy: latencyLeft 2 */
/* pack scheduling: packAIdx:4, packBIdx:2 */
v_perm_b32 v[vgprValuA_X1_I0+4], v[vgprValuA_X1_I0_D1+1], v[vgprValuA_X1_I0_D0+1], s[sgprPackKForV0] // select K=01 for vector=0
v_perm_b32 v[vgprValuA_X1_I0+5], v[vgprValuA_X1_I0_D3+1], v[vgprValuA_X1_I0_D2+1], s[sgprPackKForV0] // select K=23 for vector=0
v_mfma_f32_16x16x16_f16 a[4+0:7+0], v[vgprValuB_X1_I0+0+0+0:vgprValuB_X1_I0+0+0+0+1], v[vgprValuA_X1_I0+2+0+0:vgprValuA_X1_I0+2+0+0+1], a[4:7]
/*  mfmaIndex:34  */
/* localReadsVacancy: latencyLeft 2 */
/* pack scheduling: packAIdx:6, packBIdx:2 */
v_perm_b32 v[vgprValuA_X1_I0+6], v[vgprValuA_X1_I0_D1+1], v[vgprValuA_X1_I0_D0+1], s[sgprPackKForV1] // select K=01 for vector=1
v_perm_b32 v[vgprValuA_X1_I0+7], v[vgprValuA_X1_I0_D3+1], v[vgprValuA_X1_I0_D2+1], s[sgprPackKForV1] // select K=23 for vector=1
v_mfma_f32_16x16x16_f16 a[8+0:11+0], v[vgprValuB_X1_I0+0+0+0:vgprValuB_X1_I0+0+0+0+1], v[vgprValuA_X1_I0+4+0+0:vgprValuA_X1_I0+4+0+0+1], a[8:11]
/*  mfmaIndex:35  */
/* localReadsVacancy: latencyLeft 2 */
/* pack scheduling: packAIdx:8, packBIdx:2 */
v_perm_b32 v[vgprValuB_X1_I0+2], v[vgprValuB_X1_I0_D1+0], v[vgprValuB_X1_I0_D0+0], s[sgprPackKForV1] // select K=01 for vector=1
v_perm_b32 v[vgprValuB_X1_I0+3], v[vgprValuB_X1_I0_D3+0], v[vgprValuB_X1_I0_D2+0], s[sgprPackKForV1] // select K=23 for vector=1
v_mfma_f32_16x16x16_f16 a[12+0:15+0], v[vgprValuB_X1_I0+0+0+0:vgprValuB_X1_I0+0+0+0+1], v[vgprValuA_X1_I0+6+0+0:vgprValuA_X1_I0+6+0+0+1], a[12:15]
/*  mfmaIndex:36  */
/* localReadsVacancy: latencyLeft 2 */
/* pack scheduling: packAIdx:8, packBIdx:4 */
v_perm_b32 v[vgprValuB_X1_I0+4], v[vgprValuB_X1_I0_D1+1], v[vgprValuB_X1_I0_D0+1], s[sgprPackKForV0] // select K=01 for vector=0
v_perm_b32 v[vgprValuB_X1_I0+5], v[vgprValuB_X1_I0_D3+1], v[vgprValuB_X1_I0_D2+1], s[sgprPackKForV0] // select K=23 for vector=0
v_mfma_f32_16x16x16_f16 a[28+0:31+0], v[vgprValuB_X1_I0+2+0+0:vgprValuB_X1_I0+2+0+0+1], v[vgprValuA_X1_I0+6+0+0:vgprValuA_X1_I0+6+0+0+1], a[28:31]
/*  mfmaIndex:37  */
/* localReadsVacancy: latencyLeft 2 */
/* pack scheduling: packAIdx:8, packBIdx:4 */
v_perm_b32 v[vgprValuB_X1_I0+6], v[vgprValuB_X1_I0_D1+1], v[vgprValuB_X1_I0_D0+1], s[sgprPackKForV1] // select K=01 for vector=1
v_perm_b32 v[vgprValuB_X1_I0+7], v[vgprValuB_X1_I0_D3+1], v[vgprValuB_X1_I0_D2+1], s[sgprPackKForV1] // select K=23 for vector=1
v_mfma_f32_16x16x16_f16 a[24+0:27+0], v[vgprValuB_X1_I0+2+0+0:vgprValuB_X1_I0+2+0+0+1], v[vgprValuA_X1_I0+4+0+0:vgprValuA_X1_I0+4+0+0+1], a[24:27]
/*  mfmaIndex:38  */
/* localReadsVacancy: latencyLeft 2 */
/* pack scheduling: packAIdx:8, packBIdx:4 */
v_perm_b32 v[vgprValuB_X1_I0+8], v[vgprValuB_X1_I0_D1+2], v[vgprValuB_X1_I0_D0+2], s[sgprPackKForV0] // select K=01 for vector=0
v_perm_b32 v[vgprValuB_X1_I0+9], v[vgprValuB_X1_I0_D3+2], v[vgprValuB_X1_I0_D2+2], s[sgprPackKForV0] // select K=23 for vector=0
	;; [unrolled: 12-line block ×3, first 2 shown]
v_mfma_f32_16x16x16_f16 a[32+0:35+0], v[vgprValuB_X1_I0+4+0+0:vgprValuB_X1_I0+4+0+0+1], v[vgprValuA_X1_I0+0+0+0:vgprValuA_X1_I0+0+0+0+1], a[32:35]
/*  mfmaIndex:41  */
/* localReadsVacancy: latencyLeft 2 */
/* pack scheduling: packAIdx:8, packBIdx:6 */
v_perm_b32 v[vgprValuB_X1_I0+14], v[vgprValuB_X1_I0_D1+3], v[vgprValuB_X1_I0_D0+3], s[sgprPackKForV1] // select K=01 for vector=1
v_perm_b32 v[vgprValuB_X1_I0+15], v[vgprValuB_X1_I0_D3+3], v[vgprValuB_X1_I0_D2+3], s[sgprPackKForV1] // select K=23 for vector=1
v_mfma_f32_16x16x16_f16 a[36+0:39+0], v[vgprValuB_X1_I0+4+0+0:vgprValuB_X1_I0+4+0+0+1], v[vgprValuA_X1_I0+2+0+0:vgprValuA_X1_I0+2+0+0+1], a[36:39]
/*  mfmaIndex:42  */
/* localReadsVacancy: latencyLeft 2 */
v_mfma_f32_16x16x16_f16 a[40+0:43+0], v[vgprValuB_X1_I0+4+0+0:vgprValuB_X1_I0+4+0+0+1], v[vgprValuA_X1_I0+4+0+0:vgprValuA_X1_I0+4+0+0+1], a[40:43]
/*  mfmaIndex:43  */
/* localReadsVacancy: latencyLeft 2 */
	;; [unrolled: 3-line block ×22, first 2 shown]
v_mfma_f32_16x16x16_f16 a[112+0:115+0], v[vgprValuB_X1_I0+14+0+0:vgprValuB_X1_I0+14+0+0+1], v[vgprValuA_X1_I0+0+0+0:vgprValuA_X1_I0+0+0+0+1], a[112:115]
s_setprio 0                                        // store optimization
/* numPrefetchIter=0 */
/* dataAtIterA=0 numReadsIterA=2 skipReadsIterA=1 readsPerIterA=1 */
/* dataAtIterB=0 numReadsIterB=2 skipReadsIterB=1 readsPerIterB=8 */


/* iter 2 (last unrolled loop) */

s_waitcnt vmcnt(4)                                 // lgkmcnt=-1 vmcnt=4global read wait for DirectToVgpr

/*  grEndMfmaIndex:0, lwStartMfmaIndex:108, lwEndMfmaIndex:108  */
/*  numMfmaForLR:13, barrierMfmaIndex:114 */
/*  mfmaIndex:64  */
/* localReadsVacancy: latencyLeft 2 */
s_waitcnt lgkmcnt(0)                               // lgkmcnt=0 vmcnt=-1wait for prior local read local write old=0, new=0 newLW=0 newLR=0
/* pack scheduling: packAIdx:2, packBIdx:2 */
v_perm_b32 v[vgprValuA_X2_I0+0], v[vgprValuA_X2_I0_D1+0], v[vgprValuA_X2_I0_D0+0], s[sgprPackKForV0] // select K=01 for vector=0
v_perm_b32 v[vgprValuA_X2_I0+1], v[vgprValuA_X2_I0_D3+0], v[vgprValuA_X2_I0_D2+0], s[sgprPackKForV0] // select K=23 for vector=0
v_perm_b32 v[vgprValuB_X2_I0+0], v[vgprValuB_X2_I0_D1+0], v[vgprValuB_X2_I0_D0+0], s[sgprPackKForV0] // select K=01 for vector=0
v_perm_b32 v[vgprValuB_X2_I0+1], v[vgprValuB_X2_I0_D3+0], v[vgprValuB_X2_I0_D2+0], s[sgprPackKForV0] // select K=23 for vector=0
v_perm_b32 v[vgprValuA_X2_I0+2], v[vgprValuA_X2_I0_D1+0], v[vgprValuA_X2_I0_D0+0], s[sgprPackKForV1] // select K=01 for vector=1
v_perm_b32 v[vgprValuA_X2_I0+3], v[vgprValuA_X2_I0_D3+0], v[vgprValuA_X2_I0_D2+0], s[sgprPackKForV1] // select K=23 for vector=1
v_mfma_f32_16x16x16_f16 a[0+0:3+0], v[vgprValuB_X2_I0+0+0+0:vgprValuB_X2_I0+0+0+0+1], v[vgprValuA_X2_I0+0+0+0:vgprValuA_X2_I0+0+0+0+1], a[0:3]
/*  mfmaIndex:65  */
/* localReadsVacancy: latencyLeft 2 */
/* pack scheduling: packAIdx:4, packBIdx:2 */
v_perm_b32 v[vgprValuA_X2_I0+4], v[vgprValuA_X2_I0_D1+1], v[vgprValuA_X2_I0_D0+1], s[sgprPackKForV0] // select K=01 for vector=0
v_perm_b32 v[vgprValuA_X2_I0+5], v[vgprValuA_X2_I0_D3+1], v[vgprValuA_X2_I0_D2+1], s[sgprPackKForV0] // select K=23 for vector=0
v_mfma_f32_16x16x16_f16 a[4+0:7+0], v[vgprValuB_X2_I0+0+0+0:vgprValuB_X2_I0+0+0+0+1], v[vgprValuA_X2_I0+2+0+0:vgprValuA_X2_I0+2+0+0+1], a[4:7]
/*  mfmaIndex:66  */
/* localReadsVacancy: latencyLeft 2 */
/* pack scheduling: packAIdx:6, packBIdx:2 */
v_perm_b32 v[vgprValuA_X2_I0+6], v[vgprValuA_X2_I0_D1+1], v[vgprValuA_X2_I0_D0+1], s[sgprPackKForV1] // select K=01 for vector=1
v_perm_b32 v[vgprValuA_X2_I0+7], v[vgprValuA_X2_I0_D3+1], v[vgprValuA_X2_I0_D2+1], s[sgprPackKForV1] // select K=23 for vector=1
v_mfma_f32_16x16x16_f16 a[8+0:11+0], v[vgprValuB_X2_I0+0+0+0:vgprValuB_X2_I0+0+0+0+1], v[vgprValuA_X2_I0+4+0+0:vgprValuA_X2_I0+4+0+0+1], a[8:11]
/*  mfmaIndex:67  */
/* localReadsVacancy: latencyLeft 2 */
/* pack scheduling: packAIdx:8, packBIdx:2 */
v_perm_b32 v[vgprValuB_X2_I0+2], v[vgprValuB_X2_I0_D1+0], v[vgprValuB_X2_I0_D0+0], s[sgprPackKForV1] // select K=01 for vector=1
v_perm_b32 v[vgprValuB_X2_I0+3], v[vgprValuB_X2_I0_D3+0], v[vgprValuB_X2_I0_D2+0], s[sgprPackKForV1] // select K=23 for vector=1
v_mfma_f32_16x16x16_f16 a[12+0:15+0], v[vgprValuB_X2_I0+0+0+0:vgprValuB_X2_I0+0+0+0+1], v[vgprValuA_X2_I0+6+0+0:vgprValuA_X2_I0+6+0+0+1], a[12:15]
/*  mfmaIndex:68  */
/* localReadsVacancy: latencyLeft 2 */
/* pack scheduling: packAIdx:8, packBIdx:4 */
v_perm_b32 v[vgprValuB_X2_I0+4], v[vgprValuB_X2_I0_D1+1], v[vgprValuB_X2_I0_D0+1], s[sgprPackKForV0] // select K=01 for vector=0
v_perm_b32 v[vgprValuB_X2_I0+5], v[vgprValuB_X2_I0_D3+1], v[vgprValuB_X2_I0_D2+1], s[sgprPackKForV0] // select K=23 for vector=0
v_mfma_f32_16x16x16_f16 a[28+0:31+0], v[vgprValuB_X2_I0+2+0+0:vgprValuB_X2_I0+2+0+0+1], v[vgprValuA_X2_I0+6+0+0:vgprValuA_X2_I0+6+0+0+1], a[28:31]
/*  mfmaIndex:69  */
/* localReadsVacancy: latencyLeft 2 */
/* pack scheduling: packAIdx:8, packBIdx:4 */
v_perm_b32 v[vgprValuB_X2_I0+6], v[vgprValuB_X2_I0_D1+1], v[vgprValuB_X2_I0_D0+1], s[sgprPackKForV1] // select K=01 for vector=1
v_perm_b32 v[vgprValuB_X2_I0+7], v[vgprValuB_X2_I0_D3+1], v[vgprValuB_X2_I0_D2+1], s[sgprPackKForV1] // select K=23 for vector=1
v_mfma_f32_16x16x16_f16 a[24+0:27+0], v[vgprValuB_X2_I0+2+0+0:vgprValuB_X2_I0+2+0+0+1], v[vgprValuA_X2_I0+4+0+0:vgprValuA_X2_I0+4+0+0+1], a[24:27]
/*  mfmaIndex:70  */
/* localReadsVacancy: latencyLeft 2 */
/* pack scheduling: packAIdx:8, packBIdx:4 */
v_perm_b32 v[vgprValuB_X2_I0+8], v[vgprValuB_X2_I0_D1+2], v[vgprValuB_X2_I0_D0+2], s[sgprPackKForV0] // select K=01 for vector=0
v_perm_b32 v[vgprValuB_X2_I0+9], v[vgprValuB_X2_I0_D3+2], v[vgprValuB_X2_I0_D2+2], s[sgprPackKForV0] // select K=23 for vector=0
	;; [unrolled: 12-line block ×3, first 2 shown]
v_mfma_f32_16x16x16_f16 a[32+0:35+0], v[vgprValuB_X2_I0+4+0+0:vgprValuB_X2_I0+4+0+0+1], v[vgprValuA_X2_I0+0+0+0:vgprValuA_X2_I0+0+0+0+1], a[32:35]
/*  mfmaIndex:73  */
/* localReadsVacancy: latencyLeft 2 */
/* pack scheduling: packAIdx:8, packBIdx:6 */
v_perm_b32 v[vgprValuB_X2_I0+14], v[vgprValuB_X2_I0_D1+3], v[vgprValuB_X2_I0_D0+3], s[sgprPackKForV1] // select K=01 for vector=1
v_perm_b32 v[vgprValuB_X2_I0+15], v[vgprValuB_X2_I0_D3+3], v[vgprValuB_X2_I0_D2+3], s[sgprPackKForV1] // select K=23 for vector=1
v_mfma_f32_16x16x16_f16 a[36+0:39+0], v[vgprValuB_X2_I0+4+0+0:vgprValuB_X2_I0+4+0+0+1], v[vgprValuA_X2_I0+2+0+0:vgprValuA_X2_I0+2+0+0+1], a[36:39]
/*  mfmaIndex:74  */
/* localReadsVacancy: latencyLeft 2 */
v_mfma_f32_16x16x16_f16 a[40+0:43+0], v[vgprValuB_X2_I0+4+0+0:vgprValuB_X2_I0+4+0+0+1], v[vgprValuA_X2_I0+4+0+0:vgprValuA_X2_I0+4+0+0+1], a[40:43]
/*  mfmaIndex:75  */
/* localReadsVacancy: latencyLeft 2 */
	;; [unrolled: 3-line block ×22, first 2 shown]
v_mfma_f32_16x16x16_f16 a[112+0:115+0], v[vgprValuB_X2_I0+14+0+0:vgprValuB_X2_I0+14+0+0+1], v[vgprValuA_X2_I0+0+0+0:vgprValuA_X2_I0+0+0+0+1], a[112:115]
/* numPrefetchIter=0 */
/* dataAtIterA=1 numReadsIterA=3 skipReadsIterA=1 readsPerIterA=1 */
/* dataAtIterB=1 numReadsIterB=3 skipReadsIterB=1 readsPerIterB=8 */


/* iter 3 (last unrolled loop) */

s_waitcnt vmcnt(0)                                 // lgkmcnt=-1 vmcnt=0global read wait for DirectToVgpr

/*  grEndMfmaIndex:0, lwStartMfmaIndex:108, lwEndMfmaIndex:108  */
/*  numMfmaForLR:13, barrierMfmaIndex:114 */
/*  mfmaIndex:96  */
s_waitcnt lgkmcnt(0)                               // lgkmcnt=0 vmcnt=-1wait for prior local read local write old=0, new=0 newLW=0 newLR=0
/* pack scheduling: packAIdx:2, packBIdx:2 */
v_perm_b32 v[vgprValuA_X3_I0+0], v[vgprValuA_X3_I0_D1+0], v[vgprValuA_X3_I0_D0+0], s[sgprPackKForV0] // select K=01 for vector=0
v_perm_b32 v[vgprValuA_X3_I0+1], v[vgprValuA_X3_I0_D3+0], v[vgprValuA_X3_I0_D2+0], s[sgprPackKForV0] // select K=23 for vector=0
v_perm_b32 v[vgprValuB_X3_I0+0], v[vgprValuB_X3_I0_D1+0], v[vgprValuB_X3_I0_D0+0], s[sgprPackKForV0] // select K=01 for vector=0
v_perm_b32 v[vgprValuB_X3_I0+1], v[vgprValuB_X3_I0_D3+0], v[vgprValuB_X3_I0_D2+0], s[sgprPackKForV0] // select K=23 for vector=0
v_perm_b32 v[vgprValuA_X3_I0+2], v[vgprValuA_X3_I0_D1+0], v[vgprValuA_X3_I0_D0+0], s[sgprPackKForV1] // select K=01 for vector=1
v_perm_b32 v[vgprValuA_X3_I0+3], v[vgprValuA_X3_I0_D3+0], v[vgprValuA_X3_I0_D2+0], s[sgprPackKForV1] // select K=23 for vector=1
v_mfma_f32_16x16x16_f16 a[0+0:3+0], v[vgprValuB_X3_I0+0+0+0:vgprValuB_X3_I0+0+0+0+1], v[vgprValuA_X3_I0+0+0+0:vgprValuA_X3_I0+0+0+0+1], a[0:3]
/*  mfmaIndex:97  */
/* pack scheduling: packAIdx:4, packBIdx:2 */
v_perm_b32 v[vgprValuA_X3_I0+4], v[vgprValuA_X3_I0_D1+1], v[vgprValuA_X3_I0_D0+1], s[sgprPackKForV0] // select K=01 for vector=0
v_perm_b32 v[vgprValuA_X3_I0+5], v[vgprValuA_X3_I0_D3+1], v[vgprValuA_X3_I0_D2+1], s[sgprPackKForV0] // select K=23 for vector=0
v_mfma_f32_16x16x16_f16 a[4+0:7+0], v[vgprValuB_X3_I0+0+0+0:vgprValuB_X3_I0+0+0+0+1], v[vgprValuA_X3_I0+2+0+0:vgprValuA_X3_I0+2+0+0+1], a[4:7]
/*  mfmaIndex:98  */
/* pack scheduling: packAIdx:6, packBIdx:2 */
v_perm_b32 v[vgprValuA_X3_I0+6], v[vgprValuA_X3_I0_D1+1], v[vgprValuA_X3_I0_D0+1], s[sgprPackKForV1] // select K=01 for vector=1
v_perm_b32 v[vgprValuA_X3_I0+7], v[vgprValuA_X3_I0_D3+1], v[vgprValuA_X3_I0_D2+1], s[sgprPackKForV1] // select K=23 for vector=1
v_mfma_f32_16x16x16_f16 a[8+0:11+0], v[vgprValuB_X3_I0+0+0+0:vgprValuB_X3_I0+0+0+0+1], v[vgprValuA_X3_I0+4+0+0:vgprValuA_X3_I0+4+0+0+1], a[8:11]
/*  mfmaIndex:99  */
/* pack scheduling: packAIdx:8, packBIdx:2 */
v_perm_b32 v[vgprValuB_X3_I0+2], v[vgprValuB_X3_I0_D1+0], v[vgprValuB_X3_I0_D0+0], s[sgprPackKForV1] // select K=01 for vector=1
v_perm_b32 v[vgprValuB_X3_I0+3], v[vgprValuB_X3_I0_D3+0], v[vgprValuB_X3_I0_D2+0], s[sgprPackKForV1] // select K=23 for vector=1
v_mfma_f32_16x16x16_f16 a[12+0:15+0], v[vgprValuB_X3_I0+0+0+0:vgprValuB_X3_I0+0+0+0+1], v[vgprValuA_X3_I0+6+0+0:vgprValuA_X3_I0+6+0+0+1], a[12:15]
/*  mfmaIndex:100  */
/* pack scheduling: packAIdx:8, packBIdx:4 */
v_perm_b32 v[vgprValuB_X3_I0+4], v[vgprValuB_X3_I0_D1+1], v[vgprValuB_X3_I0_D0+1], s[sgprPackKForV0] // select K=01 for vector=0
v_perm_b32 v[vgprValuB_X3_I0+5], v[vgprValuB_X3_I0_D3+1], v[vgprValuB_X3_I0_D2+1], s[sgprPackKForV0] // select K=23 for vector=0
v_mfma_f32_16x16x16_f16 a[28+0:31+0], v[vgprValuB_X3_I0+2+0+0:vgprValuB_X3_I0+2+0+0+1], v[vgprValuA_X3_I0+6+0+0:vgprValuA_X3_I0+6+0+0+1], a[28:31]
/*  mfmaIndex:101  */
/* pack scheduling: packAIdx:8, packBIdx:4 */
v_perm_b32 v[vgprValuB_X3_I0+6], v[vgprValuB_X3_I0_D1+1], v[vgprValuB_X3_I0_D0+1], s[sgprPackKForV1] // select K=01 for vector=1
v_perm_b32 v[vgprValuB_X3_I0+7], v[vgprValuB_X3_I0_D3+1], v[vgprValuB_X3_I0_D2+1], s[sgprPackKForV1] // select K=23 for vector=1
v_mfma_f32_16x16x16_f16 a[24+0:27+0], v[vgprValuB_X3_I0+2+0+0:vgprValuB_X3_I0+2+0+0+1], v[vgprValuA_X3_I0+4+0+0:vgprValuA_X3_I0+4+0+0+1], a[24:27]
/*  mfmaIndex:102  */
/* pack scheduling: packAIdx:8, packBIdx:4 */
v_perm_b32 v[vgprValuB_X3_I0+8], v[vgprValuB_X3_I0_D1+2], v[vgprValuB_X3_I0_D0+2], s[sgprPackKForV0] // select K=01 for vector=0
v_perm_b32 v[vgprValuB_X3_I0+9], v[vgprValuB_X3_I0_D3+2], v[vgprValuB_X3_I0_D2+2], s[sgprPackKForV0] // select K=23 for vector=0
	;; [unrolled: 10-line block ×3, first 2 shown]
v_mfma_f32_16x16x16_f16 a[32+0:35+0], v[vgprValuB_X3_I0+4+0+0:vgprValuB_X3_I0+4+0+0+1], v[vgprValuA_X3_I0+0+0+0:vgprValuA_X3_I0+0+0+0+1], a[32:35]
/*  mfmaIndex:105  */
/* pack scheduling: packAIdx:8, packBIdx:6 */
v_perm_b32 v[vgprValuB_X3_I0+14], v[vgprValuB_X3_I0_D1+3], v[vgprValuB_X3_I0_D0+3], s[sgprPackKForV1] // select K=01 for vector=1
v_perm_b32 v[vgprValuB_X3_I0+15], v[vgprValuB_X3_I0_D3+3], v[vgprValuB_X3_I0_D2+3], s[sgprPackKForV1] // select K=23 for vector=1
v_mfma_f32_16x16x16_f16 a[36+0:39+0], v[vgprValuB_X3_I0+4+0+0:vgprValuB_X3_I0+4+0+0+1], v[vgprValuA_X3_I0+2+0+0:vgprValuA_X3_I0+2+0+0+1], a[36:39]
/*  mfmaIndex:106  */
v_mfma_f32_16x16x16_f16 a[40+0:43+0], v[vgprValuB_X3_I0+4+0+0:vgprValuB_X3_I0+4+0+0+1], v[vgprValuA_X3_I0+4+0+0:vgprValuA_X3_I0+4+0+0+1], a[40:43]
/*  mfmaIndex:107  */
/* 1 LDS buffer: read-sync-write */
s_waitcnt lgkmcnt(0)                               // 
s_barrier                                          // 
v_mfma_f32_16x16x16_f16 a[44+0:47+0], v[vgprValuB_X3_I0+4+0+0:vgprValuB_X3_I0+4+0+0+1], v[vgprValuA_X3_I0+6+0+0:vgprValuA_X3_I0+6+0+0+1], a[44:47]
/*  mfmaIndex:108  */
v_mfma_f32_16x16x16_f16 a[60+0:63+0], v[vgprValuB_X3_I0+6+0+0:vgprValuB_X3_I0+6+0+0+1], v[vgprValuA_X3_I0+6+0+0:vgprValuA_X3_I0+6+0+0+1], a[60:63]
/*  mfmaIndex:109  */
v_mfma_f32_16x16x16_f16 a[56+0:59+0], v[vgprValuB_X3_I0+6+0+0:vgprValuB_X3_I0+6+0+0+1], v[vgprValuA_X3_I0+4+0+0:vgprValuA_X3_I0+4+0+0+1], a[56:59]
/*  mfmaIndex:110  */
v_mfma_f32_16x16x16_f16 a[52+0:55+0], v[vgprValuB_X3_I0+6+0+0:vgprValuB_X3_I0+6+0+0+1], v[vgprValuA_X3_I0+2+0+0:vgprValuA_X3_I0+2+0+0+1], a[52:55]
/*  mfmaIndex:111  */
v_mfma_f32_16x16x16_f16 a[48+0:51+0], v[vgprValuB_X3_I0+6+0+0:vgprValuB_X3_I0+6+0+0+1], v[vgprValuA_X3_I0+0+0+0:vgprValuA_X3_I0+0+0+0+1], a[48:51]
/*  mfmaIndex:112  */
v_mfma_f32_16x16x16_f16 a[64+0:67+0], v[vgprValuB_X3_I0+8+0+0:vgprValuB_X3_I0+8+0+0+1], v[vgprValuA_X3_I0+0+0+0:vgprValuA_X3_I0+0+0+0+1], a[64:67]
/*  mfmaIndex:113  */
v_mfma_f32_16x16x16_f16 a[68+0:71+0], v[vgprValuB_X3_I0+8+0+0:vgprValuB_X3_I0+8+0+0+1], v[vgprValuA_X3_I0+2+0+0:vgprValuA_X3_I0+2+0+0+1], a[68:71]
/*  mfmaIndex:114  */
v_mfma_f32_16x16x16_f16 a[72+0:75+0], v[vgprValuB_X3_I0+8+0+0:vgprValuB_X3_I0+8+0+0+1], v[vgprValuA_X3_I0+4+0+0:vgprValuA_X3_I0+4+0+0+1], a[72:75]
/*  mfmaIndex:115  */
v_mfma_f32_16x16x16_f16 a[76+0:79+0], v[vgprValuB_X3_I0+8+0+0:vgprValuB_X3_I0+8+0+0+1], v[vgprValuA_X3_I0+6+0+0:vgprValuA_X3_I0+6+0+0+1], a[76:79]
/*  mfmaIndex:116  */
v_mfma_f32_16x16x16_f16 a[92+0:95+0], v[vgprValuB_X3_I0+10+0+0:vgprValuB_X3_I0+10+0+0+1], v[vgprValuA_X3_I0+6+0+0:vgprValuA_X3_I0+6+0+0+1], a[92:95]
/*  mfmaIndex:117  */
v_mfma_f32_16x16x16_f16 a[88+0:91+0], v[vgprValuB_X3_I0+10+0+0:vgprValuB_X3_I0+10+0+0+1], v[vgprValuA_X3_I0+4+0+0:vgprValuA_X3_I0+4+0+0+1], a[88:91]
/*  mfmaIndex:118  */
v_mfma_f32_16x16x16_f16 a[84+0:87+0], v[vgprValuB_X3_I0+10+0+0:vgprValuB_X3_I0+10+0+0+1], v[vgprValuA_X3_I0+2+0+0:vgprValuA_X3_I0+2+0+0+1], a[84:87]
/*  mfmaIndex:119  */
v_mfma_f32_16x16x16_f16 a[80+0:83+0], v[vgprValuB_X3_I0+10+0+0:vgprValuB_X3_I0+10+0+0+1], v[vgprValuA_X3_I0+0+0+0:vgprValuA_X3_I0+0+0+0+1], a[80:83]
/*  mfmaIndex:120  */
v_mfma_f32_16x16x16_f16 a[96+0:99+0], v[vgprValuB_X3_I0+12+0+0:vgprValuB_X3_I0+12+0+0+1], v[vgprValuA_X3_I0+0+0+0:vgprValuA_X3_I0+0+0+0+1], a[96:99]
/*  mfmaIndex:121  */
v_mfma_f32_16x16x16_f16 a[100+0:103+0], v[vgprValuB_X3_I0+12+0+0:vgprValuB_X3_I0+12+0+0+1], v[vgprValuA_X3_I0+2+0+0:vgprValuA_X3_I0+2+0+0+1], a[100:103]
/*  mfmaIndex:122  */
v_mfma_f32_16x16x16_f16 a[104+0:107+0], v[vgprValuB_X3_I0+12+0+0:vgprValuB_X3_I0+12+0+0+1], v[vgprValuA_X3_I0+4+0+0:vgprValuA_X3_I0+4+0+0+1], a[104:107]
/*  mfmaIndex:123  */
v_mfma_f32_16x16x16_f16 a[108+0:111+0], v[vgprValuB_X3_I0+12+0+0:vgprValuB_X3_I0+12+0+0+1], v[vgprValuA_X3_I0+6+0+0:vgprValuA_X3_I0+6+0+0+1], a[108:111]
/*  mfmaIndex:124  */
v_mfma_f32_16x16x16_f16 a[124+0:127+0], v[vgprValuB_X3_I0+14+0+0:vgprValuB_X3_I0+14+0+0+1], v[vgprValuA_X3_I0+6+0+0:vgprValuA_X3_I0+6+0+0+1], a[124:127]
/*  mfmaIndex:125  */
v_mfma_f32_16x16x16_f16 a[120+0:123+0], v[vgprValuB_X3_I0+14+0+0:vgprValuB_X3_I0+14+0+0+1], v[vgprValuA_X3_I0+4+0+0:vgprValuA_X3_I0+4+0+0+1], a[120:123]
/*  mfmaIndex:126  */
v_mfma_f32_16x16x16_f16 a[116+0:119+0], v[vgprValuB_X3_I0+14+0+0:vgprValuB_X3_I0+14+0+0+1], v[vgprValuA_X3_I0+2+0+0:vgprValuA_X3_I0+2+0+0+1], a[116:119]
/*  mfmaIndex:127  */
v_mfma_f32_16x16x16_f16 a[112+0:115+0], v[vgprValuB_X3_I0+14+0+0:vgprValuB_X3_I0+14+0+0+1], v[vgprValuA_X3_I0+0+0+0:vgprValuA_X3_I0+0+0+0+1], a[112:115]
/* numPrefetchIter=0 */
/* dataAtIterA=2 numReadsIterA=3 skipReadsIterA=0 readsPerIterA=1 */
/* dataAtIterB=2 numReadsIterB=3 skipReadsIterB=0 readsPerIterB=8 */

s_branch label_0017                                // Skip even code
label_0016: // EvenStartNoLoadLoopOpt 


	;; [unrolled: 1-line block ×3, first 2 shown]
/* iter 0 (last unrolled loop) */

s_waitcnt vmcnt(12)                                // lgkmcnt=-1 vmcnt=12global read wait for DirectToVgpr

/*  grEndMfmaIndex:0, lwStartMfmaIndex:108, lwEndMfmaIndex:108  */
/*  numMfmaForLR:13, barrierMfmaIndex:114 */
/*  mfmaIndex:0  */
s_waitcnt lgkmcnt(0)                               // lgkmcnt=0 vmcnt=-1wait for prior local read local write old=0, new=0 newLW=0 newLR=0
/* pack scheduling: packAIdx:2, packBIdx:2 */
v_perm_b32 v[vgprValuA_X4_I0+0], v[vgprValuA_X4_I0_D1+0], v[vgprValuA_X4_I0_D0+0], s[sgprPackKForV0] // select K=01 for vector=0
v_perm_b32 v[vgprValuA_X4_I0+1], v[vgprValuA_X4_I0_D3+0], v[vgprValuA_X4_I0_D2+0], s[sgprPackKForV0] // select K=23 for vector=0
v_perm_b32 v[vgprValuB_X0_I0+0], v[vgprValuB_X0_I0_D1+0], v[vgprValuB_X0_I0_D0+0], s[sgprPackKForV0] // select K=01 for vector=0
v_perm_b32 v[vgprValuB_X0_I0+1], v[vgprValuB_X0_I0_D3+0], v[vgprValuB_X0_I0_D2+0], s[sgprPackKForV0] // select K=23 for vector=0
v_perm_b32 v[vgprValuA_X4_I0+2], v[vgprValuA_X4_I0_D1+0], v[vgprValuA_X4_I0_D0+0], s[sgprPackKForV1] // select K=01 for vector=1
v_perm_b32 v[vgprValuA_X4_I0+3], v[vgprValuA_X4_I0_D3+0], v[vgprValuA_X4_I0_D2+0], s[sgprPackKForV1] // select K=23 for vector=1
v_mfma_f32_16x16x16_f16 a[0+0:3+0], v[vgprValuB_X0_I0+0+0+0:vgprValuB_X0_I0+0+0+0+1], v[vgprValuA_X4_I0+0+0+0:vgprValuA_X4_I0+0+0+0+1], a[0:3]
/*  mfmaIndex:1  */
_ds_load_b64 v[vgprValuB_X1_I0_D0+0:vgprValuB_X1_I0_D0+0+1], v[vgprLocalReadAddrB] offset:4096 // L -> Reg lro=2048 swapByteOffset=0 ti=64 vIdx=0 rIdx=0 oIdx=0 buffer=1 iui=0
s_setprio 3                                        // store optimization
/* pack scheduling: packAIdx:4, packBIdx:2 */
v_perm_b32 v[vgprValuA_X4_I0+4], v[vgprValuA_X4_I0_D1+1], v[vgprValuA_X4_I0_D0+1], s[sgprPackKForV0] // select K=01 for vector=0
v_perm_b32 v[vgprValuA_X4_I0+5], v[vgprValuA_X4_I0_D3+1], v[vgprValuA_X4_I0_D2+1], s[sgprPackKForV0] // select K=23 for vector=0
v_mfma_f32_16x16x16_f16 a[4+0:7+0], v[vgprValuB_X0_I0+0+0+0:vgprValuB_X0_I0+0+0+0+1], v[vgprValuA_X4_I0+2+0+0:vgprValuA_X4_I0+2+0+0+1], a[4:7]
/*  mfmaIndex:2  */
_ds_load_b64 v[vgprValuB_X1_I0_D1+0:vgprValuB_X1_I0_D1+0+1], v[vgprLocalReadAddrB] offset:4352 // L -> Reg lro=2048 swapByteOffset=0 ti=64 vIdx=0 rIdx=1 oIdx=0 buffer=1 iui=0
/* pack scheduling: packAIdx:6, packBIdx:2 */
v_perm_b32 v[vgprValuA_X4_I0+6], v[vgprValuA_X4_I0_D1+1], v[vgprValuA_X4_I0_D0+1], s[sgprPackKForV1] // select K=01 for vector=1
v_perm_b32 v[vgprValuA_X4_I0+7], v[vgprValuA_X4_I0_D3+1], v[vgprValuA_X4_I0_D2+1], s[sgprPackKForV1] // select K=23 for vector=1
v_mfma_f32_16x16x16_f16 a[8+0:11+0], v[vgprValuB_X0_I0+0+0+0:vgprValuB_X0_I0+0+0+0+1], v[vgprValuA_X4_I0+4+0+0:vgprValuA_X4_I0+4+0+0+1], a[8:11]
/*  mfmaIndex:3  */
_ds_load_b64 v[vgprValuB_X1_I0_D2+0:vgprValuB_X1_I0_D2+0+1], v[vgprLocalReadAddrB] offset:4608 // L -> Reg lro=2048 swapByteOffset=0 ti=64 vIdx=0 rIdx=2 oIdx=0 buffer=1 iui=0
/* pack scheduling: packAIdx:8, packBIdx:2 */
v_perm_b32 v[vgprValuB_X0_I0+2], v[vgprValuB_X0_I0_D1+0], v[vgprValuB_X0_I0_D0+0], s[sgprPackKForV1] // select K=01 for vector=1
v_perm_b32 v[vgprValuB_X0_I0+3], v[vgprValuB_X0_I0_D3+0], v[vgprValuB_X0_I0_D2+0], s[sgprPackKForV1] // select K=23 for vector=1
v_mfma_f32_16x16x16_f16 a[12+0:15+0], v[vgprValuB_X0_I0+0+0+0:vgprValuB_X0_I0+0+0+0+1], v[vgprValuA_X4_I0+6+0+0:vgprValuA_X4_I0+6+0+0+1], a[12:15]
/*  mfmaIndex:4  */
_ds_load_b64 v[vgprValuB_X1_I0_D3+0:vgprValuB_X1_I0_D3+0+1], v[vgprLocalReadAddrB] offset:4864 // L -> Reg lro=2048 swapByteOffset=0 ti=64 vIdx=0 rIdx=3 oIdx=0 buffer=1 iui=0
/* pack scheduling: packAIdx:8, packBIdx:4 */
v_perm_b32 v[vgprValuB_X0_I0+4], v[vgprValuB_X0_I0_D1+1], v[vgprValuB_X0_I0_D0+1], s[sgprPackKForV0] // select K=01 for vector=0
v_perm_b32 v[vgprValuB_X0_I0+5], v[vgprValuB_X0_I0_D3+1], v[vgprValuB_X0_I0_D2+1], s[sgprPackKForV0] // select K=23 for vector=0
v_mfma_f32_16x16x16_f16 a[28+0:31+0], v[vgprValuB_X0_I0+2+0+0:vgprValuB_X0_I0+2+0+0+1], v[vgprValuA_X4_I0+6+0+0:vgprValuA_X4_I0+6+0+0+1], a[28:31]
/*  mfmaIndex:5  */
_ds_load_b64 v[vgprValuB_X1_I0_D0+2:vgprValuB_X1_I0_D0+2+1], v[vgprLocalReadAddrB] offset:4224 // L -> Reg lro=2048 swapByteOffset=0 ti=64 vIdx=1 rIdx=0 oIdx=0 buffer=1 iui=0
/* pack scheduling: packAIdx:8, packBIdx:4 */
v_perm_b32 v[vgprValuB_X0_I0+6], v[vgprValuB_X0_I0_D1+1], v[vgprValuB_X0_I0_D0+1], s[sgprPackKForV1] // select K=01 for vector=1
v_perm_b32 v[vgprValuB_X0_I0+7], v[vgprValuB_X0_I0_D3+1], v[vgprValuB_X0_I0_D2+1], s[sgprPackKForV1] // select K=23 for vector=1
v_mfma_f32_16x16x16_f16 a[24+0:27+0], v[vgprValuB_X0_I0+2+0+0:vgprValuB_X0_I0+2+0+0+1], v[vgprValuA_X4_I0+4+0+0:vgprValuA_X4_I0+4+0+0+1], a[24:27]
/*  mfmaIndex:6  */
_ds_load_b64 v[vgprValuB_X1_I0_D1+2:vgprValuB_X1_I0_D1+2+1], v[vgprLocalReadAddrB] offset:4480 // L -> Reg lro=2048 swapByteOffset=0 ti=64 vIdx=1 rIdx=1 oIdx=0 buffer=1 iui=0
/* pack scheduling: packAIdx:8, packBIdx:4 */
v_perm_b32 v[vgprValuB_X0_I0+8], v[vgprValuB_X0_I0_D1+2], v[vgprValuB_X0_I0_D0+2], s[sgprPackKForV0] // select K=01 for vector=0
v_perm_b32 v[vgprValuB_X0_I0+9], v[vgprValuB_X0_I0_D3+2], v[vgprValuB_X0_I0_D2+2], s[sgprPackKForV0] // select K=23 for vector=0
v_mfma_f32_16x16x16_f16 a[20+0:23+0], v[vgprValuB_X0_I0+2+0+0:vgprValuB_X0_I0+2+0+0+1], v[vgprValuA_X4_I0+2+0+0:vgprValuA_X4_I0+2+0+0+1], a[20:23]
/*  mfmaIndex:7  */
_ds_load_b64 v[vgprValuB_X1_I0_D2+2:vgprValuB_X1_I0_D2+2+1], v[vgprLocalReadAddrB] offset:4736 // L -> Reg lro=2048 swapByteOffset=0 ti=64 vIdx=1 rIdx=2 oIdx=0 buffer=1 iui=0
/* pack scheduling: packAIdx:8, packBIdx:4 */
v_perm_b32 v[vgprValuB_X0_I0+10], v[vgprValuB_X0_I0_D1+2], v[vgprValuB_X0_I0_D0+2], s[sgprPackKForV1] // select K=01 for vector=1
v_perm_b32 v[vgprValuB_X0_I0+11], v[vgprValuB_X0_I0_D3+2], v[vgprValuB_X0_I0_D2+2], s[sgprPackKForV1] // select K=23 for vector=1
v_mfma_f32_16x16x16_f16 a[16+0:19+0], v[vgprValuB_X0_I0+2+0+0:vgprValuB_X0_I0+2+0+0+1], v[vgprValuA_X4_I0+0+0+0:vgprValuA_X4_I0+0+0+0+1], a[16:19]
/*  mfmaIndex:8  */
_ds_load_b64 v[vgprValuB_X1_I0_D3+2:vgprValuB_X1_I0_D3+2+1], v[vgprLocalReadAddrB] offset:4992 // L -> Reg lro=2048 swapByteOffset=0 ti=64 vIdx=1 rIdx=3 oIdx=0 buffer=1 iui=0
/* pack scheduling: packAIdx:8, packBIdx:6 */
v_perm_b32 v[vgprValuB_X0_I0+12], v[vgprValuB_X0_I0_D1+3], v[vgprValuB_X0_I0_D0+3], s[sgprPackKForV0] // select K=01 for vector=0
v_perm_b32 v[vgprValuB_X0_I0+13], v[vgprValuB_X0_I0_D3+3], v[vgprValuB_X0_I0_D2+3], s[sgprPackKForV0] // select K=23 for vector=0
v_mfma_f32_16x16x16_f16 a[32+0:35+0], v[vgprValuB_X0_I0+4+0+0:vgprValuB_X0_I0+4+0+0+1], v[vgprValuA_X4_I0+0+0+0:vgprValuA_X4_I0+0+0+0+1], a[32:35]
/*  mfmaIndex:9  */
/* localReadsVacancy: latencyLeft 2 */
_ds_load_b64 v[vgprValuB_X2_I0_D0+0:vgprValuB_X2_I0_D0+0+1], v[vgprLocalReadAddrB] offset:8192 // L -> Reg lro=4096 swapByteOffset=0 ti=64 vIdx=0 rIdx=0 oIdx=0 buffer=2 iui=0
/* pack scheduling: packAIdx:8, packBIdx:6 */
v_perm_b32 v[vgprValuB_X0_I0+14], v[vgprValuB_X0_I0_D1+3], v[vgprValuB_X0_I0_D0+3], s[sgprPackKForV1] // select K=01 for vector=1
v_perm_b32 v[vgprValuB_X0_I0+15], v[vgprValuB_X0_I0_D3+3], v[vgprValuB_X0_I0_D2+3], s[sgprPackKForV1] // select K=23 for vector=1
v_mfma_f32_16x16x16_f16 a[36+0:39+0], v[vgprValuB_X0_I0+4+0+0:vgprValuB_X0_I0+4+0+0+1], v[vgprValuA_X4_I0+2+0+0:vgprValuA_X4_I0+2+0+0+1], a[36:39]
/*  mfmaIndex:10  */
/* localReadsVacancy: latencyLeft 2 */
_ds_load_b64 v[vgprValuB_X2_I0_D1+0:vgprValuB_X2_I0_D1+0+1], v[vgprLocalReadAddrB] offset:8448 // L -> Reg lro=4096 swapByteOffset=0 ti=64 vIdx=0 rIdx=1 oIdx=0 buffer=2 iui=0
v_mfma_f32_16x16x16_f16 a[40+0:43+0], v[vgprValuB_X0_I0+4+0+0:vgprValuB_X0_I0+4+0+0+1], v[vgprValuA_X4_I0+4+0+0:vgprValuA_X4_I0+4+0+0+1], a[40:43]
/*  mfmaIndex:11  */
/* localReadsVacancy: latencyLeft 2 */
_ds_load_b64 v[vgprValuB_X2_I0_D2+0:vgprValuB_X2_I0_D2+0+1], v[vgprLocalReadAddrB] offset:8704 // L -> Reg lro=4096 swapByteOffset=0 ti=64 vIdx=0 rIdx=2 oIdx=0 buffer=2 iui=0
v_mfma_f32_16x16x16_f16 a[44+0:47+0], v[vgprValuB_X0_I0+4+0+0:vgprValuB_X0_I0+4+0+0+1], v[vgprValuA_X4_I0+6+0+0:vgprValuA_X4_I0+6+0+0+1], a[44:47]
/*  mfmaIndex:12  */
/* localReadsVacancy: latencyLeft 2 */
_ds_load_b64 v[vgprValuB_X2_I0_D3+0:vgprValuB_X2_I0_D3+0+1], v[vgprLocalReadAddrB] offset:8960 // L -> Reg lro=4096 swapByteOffset=0 ti=64 vIdx=0 rIdx=3 oIdx=0 buffer=2 iui=0
v_mfma_f32_16x16x16_f16 a[60+0:63+0], v[vgprValuB_X0_I0+6+0+0:vgprValuB_X0_I0+6+0+0+1], v[vgprValuA_X4_I0+6+0+0:vgprValuA_X4_I0+6+0+0+1], a[60:63]
/*  mfmaIndex:13  */
/* localReadsVacancy: latencyLeft 2 */
_ds_load_b64 v[vgprValuB_X2_I0_D0+2:vgprValuB_X2_I0_D0+2+1], v[vgprLocalReadAddrB] offset:8320 // L -> Reg lro=4096 swapByteOffset=0 ti=64 vIdx=1 rIdx=0 oIdx=0 buffer=2 iui=0
v_mfma_f32_16x16x16_f16 a[56+0:59+0], v[vgprValuB_X0_I0+6+0+0:vgprValuB_X0_I0+6+0+0+1], v[vgprValuA_X4_I0+4+0+0:vgprValuA_X4_I0+4+0+0+1], a[56:59]
/*  mfmaIndex:14  */
/* localReadsVacancy: latencyLeft 2 */
_ds_load_b64 v[vgprValuB_X2_I0_D1+2:vgprValuB_X2_I0_D1+2+1], v[vgprLocalReadAddrB] offset:8576 // L -> Reg lro=4096 swapByteOffset=0 ti=64 vIdx=1 rIdx=1 oIdx=0 buffer=2 iui=0
v_mfma_f32_16x16x16_f16 a[52+0:55+0], v[vgprValuB_X0_I0+6+0+0:vgprValuB_X0_I0+6+0+0+1], v[vgprValuA_X4_I0+2+0+0:vgprValuA_X4_I0+2+0+0+1], a[52:55]
/*  mfmaIndex:15  */
/* localReadsVacancy: latencyLeft 2 */
_ds_load_b64 v[vgprValuB_X2_I0_D2+2:vgprValuB_X2_I0_D2+2+1], v[vgprLocalReadAddrB] offset:8832 // L -> Reg lro=4096 swapByteOffset=0 ti=64 vIdx=1 rIdx=2 oIdx=0 buffer=2 iui=0
v_mfma_f32_16x16x16_f16 a[48+0:51+0], v[vgprValuB_X0_I0+6+0+0:vgprValuB_X0_I0+6+0+0+1], v[vgprValuA_X4_I0+0+0+0:vgprValuA_X4_I0+0+0+0+1], a[48:51]
/*  mfmaIndex:16  */
/* localReadsVacancy: latencyLeft 2 */
_ds_load_b64 v[vgprValuB_X2_I0_D3+2:vgprValuB_X2_I0_D3+2+1], v[vgprLocalReadAddrB] offset:9088 // L -> Reg lro=4096 swapByteOffset=0 ti=64 vIdx=1 rIdx=3 oIdx=0 buffer=2 iui=0
v_mfma_f32_16x16x16_f16 a[64+0:67+0], v[vgprValuB_X0_I0+8+0+0:vgprValuB_X0_I0+8+0+0+1], v[vgprValuA_X4_I0+0+0+0:vgprValuA_X4_I0+0+0+0+1], a[64:67]
/*  mfmaIndex:17  */
/* localReadsVacancy: latencyLeft 2 */
_ds_load_b64 v[vgprValuB_X3_I0_D0+0:vgprValuB_X3_I0_D0+0+1], v[vgprLocalReadAddrB] offset:12288 // L -> Reg lro=6144 swapByteOffset=0 ti=64 vIdx=0 rIdx=0 oIdx=0 buffer=3 iui=0
v_mfma_f32_16x16x16_f16 a[68+0:71+0], v[vgprValuB_X0_I0+8+0+0:vgprValuB_X0_I0+8+0+0+1], v[vgprValuA_X4_I0+2+0+0:vgprValuA_X4_I0+2+0+0+1], a[68:71]
/*  mfmaIndex:18  */
/* localReadsVacancy: latencyLeft 2 */
_ds_load_b64 v[vgprValuB_X3_I0_D1+0:vgprValuB_X3_I0_D1+0+1], v[vgprLocalReadAddrB] offset:12544 // L -> Reg lro=6144 swapByteOffset=0 ti=64 vIdx=0 rIdx=1 oIdx=0 buffer=3 iui=0
v_mfma_f32_16x16x16_f16 a[72+0:75+0], v[vgprValuB_X0_I0+8+0+0:vgprValuB_X0_I0+8+0+0+1], v[vgprValuA_X4_I0+4+0+0:vgprValuA_X4_I0+4+0+0+1], a[72:75]
/*  mfmaIndex:19  */
/* localReadsVacancy: latencyLeft 2 */
_ds_load_b64 v[vgprValuB_X3_I0_D2+0:vgprValuB_X3_I0_D2+0+1], v[vgprLocalReadAddrB] offset:12800 // L -> Reg lro=6144 swapByteOffset=0 ti=64 vIdx=0 rIdx=2 oIdx=0 buffer=3 iui=0
v_mfma_f32_16x16x16_f16 a[76+0:79+0], v[vgprValuB_X0_I0+8+0+0:vgprValuB_X0_I0+8+0+0+1], v[vgprValuA_X4_I0+6+0+0:vgprValuA_X4_I0+6+0+0+1], a[76:79]
/*  mfmaIndex:20  */
/* localReadsVacancy: latencyLeft 2 */
_ds_load_b64 v[vgprValuB_X3_I0_D3+0:vgprValuB_X3_I0_D3+0+1], v[vgprLocalReadAddrB] offset:13056 // L -> Reg lro=6144 swapByteOffset=0 ti=64 vIdx=0 rIdx=3 oIdx=0 buffer=3 iui=0
v_mfma_f32_16x16x16_f16 a[92+0:95+0], v[vgprValuB_X0_I0+10+0+0:vgprValuB_X0_I0+10+0+0+1], v[vgprValuA_X4_I0+6+0+0:vgprValuA_X4_I0+6+0+0+1], a[92:95]
/*  mfmaIndex:21  */
/* localReadsVacancy: latencyLeft 2 */
_ds_load_b64 v[vgprValuB_X3_I0_D0+2:vgprValuB_X3_I0_D0+2+1], v[vgprLocalReadAddrB] offset:12416 // L -> Reg lro=6144 swapByteOffset=0 ti=64 vIdx=1 rIdx=0 oIdx=0 buffer=3 iui=0
v_mfma_f32_16x16x16_f16 a[88+0:91+0], v[vgprValuB_X0_I0+10+0+0:vgprValuB_X0_I0+10+0+0+1], v[vgprValuA_X4_I0+4+0+0:vgprValuA_X4_I0+4+0+0+1], a[88:91]
/*  mfmaIndex:22  */
/* localReadsVacancy: latencyLeft 2 */
_ds_load_b64 v[vgprValuB_X3_I0_D1+2:vgprValuB_X3_I0_D1+2+1], v[vgprLocalReadAddrB] offset:12672 // L -> Reg lro=6144 swapByteOffset=0 ti=64 vIdx=1 rIdx=1 oIdx=0 buffer=3 iui=0
v_mfma_f32_16x16x16_f16 a[84+0:87+0], v[vgprValuB_X0_I0+10+0+0:vgprValuB_X0_I0+10+0+0+1], v[vgprValuA_X4_I0+2+0+0:vgprValuA_X4_I0+2+0+0+1], a[84:87]
/*  mfmaIndex:23  */
/* localReadsVacancy: latencyLeft 2 */
_ds_load_b64 v[vgprValuB_X3_I0_D2+2:vgprValuB_X3_I0_D2+2+1], v[vgprLocalReadAddrB] offset:12928 // L -> Reg lro=6144 swapByteOffset=0 ti=64 vIdx=1 rIdx=2 oIdx=0 buffer=3 iui=0
v_mfma_f32_16x16x16_f16 a[80+0:83+0], v[vgprValuB_X0_I0+10+0+0:vgprValuB_X0_I0+10+0+0+1], v[vgprValuA_X4_I0+0+0+0:vgprValuA_X4_I0+0+0+0+1], a[80:83]
/*  mfmaIndex:24  */
/* localReadsVacancy: latencyLeft 2 */
_ds_load_b64 v[vgprValuB_X3_I0_D3+2:vgprValuB_X3_I0_D3+2+1], v[vgprLocalReadAddrB] offset:13184 // L -> Reg lro=6144 swapByteOffset=0 ti=64 vIdx=1 rIdx=3 oIdx=0 buffer=3 iui=0
v_mfma_f32_16x16x16_f16 a[96+0:99+0], v[vgprValuB_X0_I0+12+0+0:vgprValuB_X0_I0+12+0+0+1], v[vgprValuA_X4_I0+0+0+0:vgprValuA_X4_I0+0+0+0+1], a[96:99]
/*  mfmaIndex:25  */
/* localReadsVacancy: latencyLeft 2 */
v_mfma_f32_16x16x16_f16 a[100+0:103+0], v[vgprValuB_X0_I0+12+0+0:vgprValuB_X0_I0+12+0+0+1], v[vgprValuA_X4_I0+2+0+0:vgprValuA_X4_I0+2+0+0+1], a[100:103]
/*  mfmaIndex:26  */
/* localReadsVacancy: latencyLeft 2 */
	;; [unrolled: 3-line block ×7, first 2 shown]
v_mfma_f32_16x16x16_f16 a[112+0:115+0], v[vgprValuB_X0_I0+14+0+0:vgprValuB_X0_I0+14+0+0+1], v[vgprValuA_X4_I0+0+0+0:vgprValuA_X4_I0+0+0+0+1], a[112:115]
/* numPrefetchIter=0 */
/* dataAtIterA=-1 numReadsIterA=1 skipReadsIterA=1 readsPerIterA=1 */
/* dataAtIterB=-1 numReadsIterB=1 skipReadsIterB=1 readsPerIterB=8 */


/* iter 1 (last unrolled loop) */

s_waitcnt vmcnt(8)                                 // lgkmcnt=-1 vmcnt=8global read wait for DirectToVgpr

/*  grEndMfmaIndex:0, lwStartMfmaIndex:108, lwEndMfmaIndex:108  */
/*  numMfmaForLR:13, barrierMfmaIndex:114 */
/*  mfmaIndex:32  */
/* localReadsVacancy: latencyLeft 2 */
s_waitcnt lgkmcnt(15)                              // lgkmcnt=0 vmcnt=-1wait for prior local read local write old=8, new=8 newLW=0 newLR=0
/* pack scheduling: packAIdx:2, packBIdx:2 */
v_perm_b32 v[vgprValuA_X5_I0+0], v[vgprValuA_X5_I0_D1+0], v[vgprValuA_X5_I0_D0+0], s[sgprPackKForV0] // select K=01 for vector=0
v_perm_b32 v[vgprValuA_X5_I0+1], v[vgprValuA_X5_I0_D3+0], v[vgprValuA_X5_I0_D2+0], s[sgprPackKForV0] // select K=23 for vector=0
v_perm_b32 v[vgprValuB_X1_I0+0], v[vgprValuB_X1_I0_D1+0], v[vgprValuB_X1_I0_D0+0], s[sgprPackKForV0] // select K=01 for vector=0
v_perm_b32 v[vgprValuB_X1_I0+1], v[vgprValuB_X1_I0_D3+0], v[vgprValuB_X1_I0_D2+0], s[sgprPackKForV0] // select K=23 for vector=0
v_perm_b32 v[vgprValuA_X5_I0+2], v[vgprValuA_X5_I0_D1+0], v[vgprValuA_X5_I0_D0+0], s[sgprPackKForV1] // select K=01 for vector=1
v_perm_b32 v[vgprValuA_X5_I0+3], v[vgprValuA_X5_I0_D3+0], v[vgprValuA_X5_I0_D2+0], s[sgprPackKForV1] // select K=23 for vector=1
v_mfma_f32_16x16x16_f16 a[0+0:3+0], v[vgprValuB_X1_I0+0+0+0:vgprValuB_X1_I0+0+0+0+1], v[vgprValuA_X5_I0+0+0+0:vgprValuA_X5_I0+0+0+0+1], a[0:3]
/*  mfmaIndex:33  */
/* localReadsVacancy: latencyLeft 2 */
/* pack scheduling: packAIdx:4, packBIdx:2 */
v_perm_b32 v[vgprValuA_X5_I0+4], v[vgprValuA_X5_I0_D1+1], v[vgprValuA_X5_I0_D0+1], s[sgprPackKForV0] // select K=01 for vector=0
v_perm_b32 v[vgprValuA_X5_I0+5], v[vgprValuA_X5_I0_D3+1], v[vgprValuA_X5_I0_D2+1], s[sgprPackKForV0] // select K=23 for vector=0
v_mfma_f32_16x16x16_f16 a[4+0:7+0], v[vgprValuB_X1_I0+0+0+0:vgprValuB_X1_I0+0+0+0+1], v[vgprValuA_X5_I0+2+0+0:vgprValuA_X5_I0+2+0+0+1], a[4:7]
/*  mfmaIndex:34  */
/* localReadsVacancy: latencyLeft 2 */
/* pack scheduling: packAIdx:6, packBIdx:2 */
v_perm_b32 v[vgprValuA_X5_I0+6], v[vgprValuA_X5_I0_D1+1], v[vgprValuA_X5_I0_D0+1], s[sgprPackKForV1] // select K=01 for vector=1
v_perm_b32 v[vgprValuA_X5_I0+7], v[vgprValuA_X5_I0_D3+1], v[vgprValuA_X5_I0_D2+1], s[sgprPackKForV1] // select K=23 for vector=1
v_mfma_f32_16x16x16_f16 a[8+0:11+0], v[vgprValuB_X1_I0+0+0+0:vgprValuB_X1_I0+0+0+0+1], v[vgprValuA_X5_I0+4+0+0:vgprValuA_X5_I0+4+0+0+1], a[8:11]
/*  mfmaIndex:35  */
/* localReadsVacancy: latencyLeft 2 */
/* pack scheduling: packAIdx:8, packBIdx:2 */
v_perm_b32 v[vgprValuB_X1_I0+2], v[vgprValuB_X1_I0_D1+0], v[vgprValuB_X1_I0_D0+0], s[sgprPackKForV1] // select K=01 for vector=1
v_perm_b32 v[vgprValuB_X1_I0+3], v[vgprValuB_X1_I0_D3+0], v[vgprValuB_X1_I0_D2+0], s[sgprPackKForV1] // select K=23 for vector=1
v_mfma_f32_16x16x16_f16 a[12+0:15+0], v[vgprValuB_X1_I0+0+0+0:vgprValuB_X1_I0+0+0+0+1], v[vgprValuA_X5_I0+6+0+0:vgprValuA_X5_I0+6+0+0+1], a[12:15]
/*  mfmaIndex:36  */
/* localReadsVacancy: latencyLeft 2 */
/* pack scheduling: packAIdx:8, packBIdx:4 */
v_perm_b32 v[vgprValuB_X1_I0+4], v[vgprValuB_X1_I0_D1+1], v[vgprValuB_X1_I0_D0+1], s[sgprPackKForV0] // select K=01 for vector=0
v_perm_b32 v[vgprValuB_X1_I0+5], v[vgprValuB_X1_I0_D3+1], v[vgprValuB_X1_I0_D2+1], s[sgprPackKForV0] // select K=23 for vector=0
v_mfma_f32_16x16x16_f16 a[28+0:31+0], v[vgprValuB_X1_I0+2+0+0:vgprValuB_X1_I0+2+0+0+1], v[vgprValuA_X5_I0+6+0+0:vgprValuA_X5_I0+6+0+0+1], a[28:31]
/*  mfmaIndex:37  */
/* localReadsVacancy: latencyLeft 2 */
/* pack scheduling: packAIdx:8, packBIdx:4 */
v_perm_b32 v[vgprValuB_X1_I0+6], v[vgprValuB_X1_I0_D1+1], v[vgprValuB_X1_I0_D0+1], s[sgprPackKForV1] // select K=01 for vector=1
v_perm_b32 v[vgprValuB_X1_I0+7], v[vgprValuB_X1_I0_D3+1], v[vgprValuB_X1_I0_D2+1], s[sgprPackKForV1] // select K=23 for vector=1
v_mfma_f32_16x16x16_f16 a[24+0:27+0], v[vgprValuB_X1_I0+2+0+0:vgprValuB_X1_I0+2+0+0+1], v[vgprValuA_X5_I0+4+0+0:vgprValuA_X5_I0+4+0+0+1], a[24:27]
/*  mfmaIndex:38  */
/* localReadsVacancy: latencyLeft 2 */
/* pack scheduling: packAIdx:8, packBIdx:4 */
v_perm_b32 v[vgprValuB_X1_I0+8], v[vgprValuB_X1_I0_D1+2], v[vgprValuB_X1_I0_D0+2], s[sgprPackKForV0] // select K=01 for vector=0
v_perm_b32 v[vgprValuB_X1_I0+9], v[vgprValuB_X1_I0_D3+2], v[vgprValuB_X1_I0_D2+2], s[sgprPackKForV0] // select K=23 for vector=0
	;; [unrolled: 12-line block ×3, first 2 shown]
v_mfma_f32_16x16x16_f16 a[32+0:35+0], v[vgprValuB_X1_I0+4+0+0:vgprValuB_X1_I0+4+0+0+1], v[vgprValuA_X5_I0+0+0+0:vgprValuA_X5_I0+0+0+0+1], a[32:35]
/*  mfmaIndex:41  */
/* localReadsVacancy: latencyLeft 2 */
/* pack scheduling: packAIdx:8, packBIdx:6 */
v_perm_b32 v[vgprValuB_X1_I0+14], v[vgprValuB_X1_I0_D1+3], v[vgprValuB_X1_I0_D0+3], s[sgprPackKForV1] // select K=01 for vector=1
v_perm_b32 v[vgprValuB_X1_I0+15], v[vgprValuB_X1_I0_D3+3], v[vgprValuB_X1_I0_D2+3], s[sgprPackKForV1] // select K=23 for vector=1
v_mfma_f32_16x16x16_f16 a[36+0:39+0], v[vgprValuB_X1_I0+4+0+0:vgprValuB_X1_I0+4+0+0+1], v[vgprValuA_X5_I0+2+0+0:vgprValuA_X5_I0+2+0+0+1], a[36:39]
/*  mfmaIndex:42  */
/* localReadsVacancy: latencyLeft 2 */
v_mfma_f32_16x16x16_f16 a[40+0:43+0], v[vgprValuB_X1_I0+4+0+0:vgprValuB_X1_I0+4+0+0+1], v[vgprValuA_X5_I0+4+0+0:vgprValuA_X5_I0+4+0+0+1], a[40:43]
/*  mfmaIndex:43  */
/* localReadsVacancy: latencyLeft 2 */
	;; [unrolled: 3-line block ×22, first 2 shown]
v_mfma_f32_16x16x16_f16 a[112+0:115+0], v[vgprValuB_X1_I0+14+0+0:vgprValuB_X1_I0+14+0+0+1], v[vgprValuA_X5_I0+0+0+0:vgprValuA_X5_I0+0+0+0+1], a[112:115]
s_setprio 0                                        // store optimization
/* numPrefetchIter=0 */
/* dataAtIterA=0 numReadsIterA=2 skipReadsIterA=1 readsPerIterA=1 */
/* dataAtIterB=0 numReadsIterB=2 skipReadsIterB=1 readsPerIterB=8 */


/* iter 2 (last unrolled loop) */

s_waitcnt vmcnt(4)                                 // lgkmcnt=-1 vmcnt=4global read wait for DirectToVgpr

/*  grEndMfmaIndex:0, lwStartMfmaIndex:108, lwEndMfmaIndex:108  */
/*  numMfmaForLR:13, barrierMfmaIndex:114 */
/*  mfmaIndex:64  */
/* localReadsVacancy: latencyLeft 2 */
s_waitcnt lgkmcnt(0)                               // lgkmcnt=0 vmcnt=-1wait for prior local read local write old=0, new=0 newLW=0 newLR=0
/* pack scheduling: packAIdx:2, packBIdx:2 */
v_perm_b32 v[vgprValuA_X6_I0+0], v[vgprValuA_X6_I0_D1+0], v[vgprValuA_X6_I0_D0+0], s[sgprPackKForV0] // select K=01 for vector=0
v_perm_b32 v[vgprValuA_X6_I0+1], v[vgprValuA_X6_I0_D3+0], v[vgprValuA_X6_I0_D2+0], s[sgprPackKForV0] // select K=23 for vector=0
v_perm_b32 v[vgprValuB_X2_I0+0], v[vgprValuB_X2_I0_D1+0], v[vgprValuB_X2_I0_D0+0], s[sgprPackKForV0] // select K=01 for vector=0
v_perm_b32 v[vgprValuB_X2_I0+1], v[vgprValuB_X2_I0_D3+0], v[vgprValuB_X2_I0_D2+0], s[sgprPackKForV0] // select K=23 for vector=0
v_perm_b32 v[vgprValuA_X6_I0+2], v[vgprValuA_X6_I0_D1+0], v[vgprValuA_X6_I0_D0+0], s[sgprPackKForV1] // select K=01 for vector=1
v_perm_b32 v[vgprValuA_X6_I0+3], v[vgprValuA_X6_I0_D3+0], v[vgprValuA_X6_I0_D2+0], s[sgprPackKForV1] // select K=23 for vector=1
v_mfma_f32_16x16x16_f16 a[0+0:3+0], v[vgprValuB_X2_I0+0+0+0:vgprValuB_X2_I0+0+0+0+1], v[vgprValuA_X6_I0+0+0+0:vgprValuA_X6_I0+0+0+0+1], a[0:3]
/*  mfmaIndex:65  */
/* localReadsVacancy: latencyLeft 2 */
/* pack scheduling: packAIdx:4, packBIdx:2 */
v_perm_b32 v[vgprValuA_X6_I0+4], v[vgprValuA_X6_I0_D1+1], v[vgprValuA_X6_I0_D0+1], s[sgprPackKForV0] // select K=01 for vector=0
v_perm_b32 v[vgprValuA_X6_I0+5], v[vgprValuA_X6_I0_D3+1], v[vgprValuA_X6_I0_D2+1], s[sgprPackKForV0] // select K=23 for vector=0
v_mfma_f32_16x16x16_f16 a[4+0:7+0], v[vgprValuB_X2_I0+0+0+0:vgprValuB_X2_I0+0+0+0+1], v[vgprValuA_X6_I0+2+0+0:vgprValuA_X6_I0+2+0+0+1], a[4:7]
/*  mfmaIndex:66  */
/* localReadsVacancy: latencyLeft 2 */
/* pack scheduling: packAIdx:6, packBIdx:2 */
v_perm_b32 v[vgprValuA_X6_I0+6], v[vgprValuA_X6_I0_D1+1], v[vgprValuA_X6_I0_D0+1], s[sgprPackKForV1] // select K=01 for vector=1
v_perm_b32 v[vgprValuA_X6_I0+7], v[vgprValuA_X6_I0_D3+1], v[vgprValuA_X6_I0_D2+1], s[sgprPackKForV1] // select K=23 for vector=1
v_mfma_f32_16x16x16_f16 a[8+0:11+0], v[vgprValuB_X2_I0+0+0+0:vgprValuB_X2_I0+0+0+0+1], v[vgprValuA_X6_I0+4+0+0:vgprValuA_X6_I0+4+0+0+1], a[8:11]
/*  mfmaIndex:67  */
/* localReadsVacancy: latencyLeft 2 */
/* pack scheduling: packAIdx:8, packBIdx:2 */
v_perm_b32 v[vgprValuB_X2_I0+2], v[vgprValuB_X2_I0_D1+0], v[vgprValuB_X2_I0_D0+0], s[sgprPackKForV1] // select K=01 for vector=1
v_perm_b32 v[vgprValuB_X2_I0+3], v[vgprValuB_X2_I0_D3+0], v[vgprValuB_X2_I0_D2+0], s[sgprPackKForV1] // select K=23 for vector=1
v_mfma_f32_16x16x16_f16 a[12+0:15+0], v[vgprValuB_X2_I0+0+0+0:vgprValuB_X2_I0+0+0+0+1], v[vgprValuA_X6_I0+6+0+0:vgprValuA_X6_I0+6+0+0+1], a[12:15]
/*  mfmaIndex:68  */
/* localReadsVacancy: latencyLeft 2 */
/* pack scheduling: packAIdx:8, packBIdx:4 */
v_perm_b32 v[vgprValuB_X2_I0+4], v[vgprValuB_X2_I0_D1+1], v[vgprValuB_X2_I0_D0+1], s[sgprPackKForV0] // select K=01 for vector=0
v_perm_b32 v[vgprValuB_X2_I0+5], v[vgprValuB_X2_I0_D3+1], v[vgprValuB_X2_I0_D2+1], s[sgprPackKForV0] // select K=23 for vector=0
v_mfma_f32_16x16x16_f16 a[28+0:31+0], v[vgprValuB_X2_I0+2+0+0:vgprValuB_X2_I0+2+0+0+1], v[vgprValuA_X6_I0+6+0+0:vgprValuA_X6_I0+6+0+0+1], a[28:31]
/*  mfmaIndex:69  */
/* localReadsVacancy: latencyLeft 2 */
/* pack scheduling: packAIdx:8, packBIdx:4 */
v_perm_b32 v[vgprValuB_X2_I0+6], v[vgprValuB_X2_I0_D1+1], v[vgprValuB_X2_I0_D0+1], s[sgprPackKForV1] // select K=01 for vector=1
v_perm_b32 v[vgprValuB_X2_I0+7], v[vgprValuB_X2_I0_D3+1], v[vgprValuB_X2_I0_D2+1], s[sgprPackKForV1] // select K=23 for vector=1
v_mfma_f32_16x16x16_f16 a[24+0:27+0], v[vgprValuB_X2_I0+2+0+0:vgprValuB_X2_I0+2+0+0+1], v[vgprValuA_X6_I0+4+0+0:vgprValuA_X6_I0+4+0+0+1], a[24:27]
/*  mfmaIndex:70  */
/* localReadsVacancy: latencyLeft 2 */
/* pack scheduling: packAIdx:8, packBIdx:4 */
v_perm_b32 v[vgprValuB_X2_I0+8], v[vgprValuB_X2_I0_D1+2], v[vgprValuB_X2_I0_D0+2], s[sgprPackKForV0] // select K=01 for vector=0
v_perm_b32 v[vgprValuB_X2_I0+9], v[vgprValuB_X2_I0_D3+2], v[vgprValuB_X2_I0_D2+2], s[sgprPackKForV0] // select K=23 for vector=0
	;; [unrolled: 12-line block ×3, first 2 shown]
v_mfma_f32_16x16x16_f16 a[32+0:35+0], v[vgprValuB_X2_I0+4+0+0:vgprValuB_X2_I0+4+0+0+1], v[vgprValuA_X6_I0+0+0+0:vgprValuA_X6_I0+0+0+0+1], a[32:35]
/*  mfmaIndex:73  */
/* localReadsVacancy: latencyLeft 2 */
/* pack scheduling: packAIdx:8, packBIdx:6 */
v_perm_b32 v[vgprValuB_X2_I0+14], v[vgprValuB_X2_I0_D1+3], v[vgprValuB_X2_I0_D0+3], s[sgprPackKForV1] // select K=01 for vector=1
v_perm_b32 v[vgprValuB_X2_I0+15], v[vgprValuB_X2_I0_D3+3], v[vgprValuB_X2_I0_D2+3], s[sgprPackKForV1] // select K=23 for vector=1
v_mfma_f32_16x16x16_f16 a[36+0:39+0], v[vgprValuB_X2_I0+4+0+0:vgprValuB_X2_I0+4+0+0+1], v[vgprValuA_X6_I0+2+0+0:vgprValuA_X6_I0+2+0+0+1], a[36:39]
/*  mfmaIndex:74  */
/* localReadsVacancy: latencyLeft 2 */
v_mfma_f32_16x16x16_f16 a[40+0:43+0], v[vgprValuB_X2_I0+4+0+0:vgprValuB_X2_I0+4+0+0+1], v[vgprValuA_X6_I0+4+0+0:vgprValuA_X6_I0+4+0+0+1], a[40:43]
/*  mfmaIndex:75  */
/* localReadsVacancy: latencyLeft 2 */
	;; [unrolled: 3-line block ×22, first 2 shown]
v_mfma_f32_16x16x16_f16 a[112+0:115+0], v[vgprValuB_X2_I0+14+0+0:vgprValuB_X2_I0+14+0+0+1], v[vgprValuA_X6_I0+0+0+0:vgprValuA_X6_I0+0+0+0+1], a[112:115]
/* numPrefetchIter=0 */
/* dataAtIterA=1 numReadsIterA=3 skipReadsIterA=1 readsPerIterA=1 */
/* dataAtIterB=1 numReadsIterB=3 skipReadsIterB=1 readsPerIterB=8 */


/* iter 3 (last unrolled loop) */

s_waitcnt vmcnt(0)                                 // lgkmcnt=-1 vmcnt=0global read wait for DirectToVgpr

/*  grEndMfmaIndex:0, lwStartMfmaIndex:108, lwEndMfmaIndex:108  */
/*  numMfmaForLR:13, barrierMfmaIndex:114 */
/*  mfmaIndex:96  */
s_waitcnt lgkmcnt(0)                               // lgkmcnt=0 vmcnt=-1wait for prior local read local write old=0, new=0 newLW=0 newLR=0
/* pack scheduling: packAIdx:2, packBIdx:2 */
v_perm_b32 v[vgprValuA_X7_I0+0], v[vgprValuA_X7_I0_D1+0], v[vgprValuA_X7_I0_D0+0], s[sgprPackKForV0] // select K=01 for vector=0
v_perm_b32 v[vgprValuA_X7_I0+1], v[vgprValuA_X7_I0_D3+0], v[vgprValuA_X7_I0_D2+0], s[sgprPackKForV0] // select K=23 for vector=0
v_perm_b32 v[vgprValuB_X3_I0+0], v[vgprValuB_X3_I0_D1+0], v[vgprValuB_X3_I0_D0+0], s[sgprPackKForV0] // select K=01 for vector=0
v_perm_b32 v[vgprValuB_X3_I0+1], v[vgprValuB_X3_I0_D3+0], v[vgprValuB_X3_I0_D2+0], s[sgprPackKForV0] // select K=23 for vector=0
v_perm_b32 v[vgprValuA_X7_I0+2], v[vgprValuA_X7_I0_D1+0], v[vgprValuA_X7_I0_D0+0], s[sgprPackKForV1] // select K=01 for vector=1
v_perm_b32 v[vgprValuA_X7_I0+3], v[vgprValuA_X7_I0_D3+0], v[vgprValuA_X7_I0_D2+0], s[sgprPackKForV1] // select K=23 for vector=1
v_mfma_f32_16x16x16_f16 a[0+0:3+0], v[vgprValuB_X3_I0+0+0+0:vgprValuB_X3_I0+0+0+0+1], v[vgprValuA_X7_I0+0+0+0:vgprValuA_X7_I0+0+0+0+1], a[0:3]
/*  mfmaIndex:97  */
/* pack scheduling: packAIdx:4, packBIdx:2 */
v_perm_b32 v[vgprValuA_X7_I0+4], v[vgprValuA_X7_I0_D1+1], v[vgprValuA_X7_I0_D0+1], s[sgprPackKForV0] // select K=01 for vector=0
v_perm_b32 v[vgprValuA_X7_I0+5], v[vgprValuA_X7_I0_D3+1], v[vgprValuA_X7_I0_D2+1], s[sgprPackKForV0] // select K=23 for vector=0
v_mfma_f32_16x16x16_f16 a[4+0:7+0], v[vgprValuB_X3_I0+0+0+0:vgprValuB_X3_I0+0+0+0+1], v[vgprValuA_X7_I0+2+0+0:vgprValuA_X7_I0+2+0+0+1], a[4:7]
/*  mfmaIndex:98  */
/* pack scheduling: packAIdx:6, packBIdx:2 */
v_perm_b32 v[vgprValuA_X7_I0+6], v[vgprValuA_X7_I0_D1+1], v[vgprValuA_X7_I0_D0+1], s[sgprPackKForV1] // select K=01 for vector=1
v_perm_b32 v[vgprValuA_X7_I0+7], v[vgprValuA_X7_I0_D3+1], v[vgprValuA_X7_I0_D2+1], s[sgprPackKForV1] // select K=23 for vector=1
v_mfma_f32_16x16x16_f16 a[8+0:11+0], v[vgprValuB_X3_I0+0+0+0:vgprValuB_X3_I0+0+0+0+1], v[vgprValuA_X7_I0+4+0+0:vgprValuA_X7_I0+4+0+0+1], a[8:11]
/*  mfmaIndex:99  */
/* pack scheduling: packAIdx:8, packBIdx:2 */
v_perm_b32 v[vgprValuB_X3_I0+2], v[vgprValuB_X3_I0_D1+0], v[vgprValuB_X3_I0_D0+0], s[sgprPackKForV1] // select K=01 for vector=1
v_perm_b32 v[vgprValuB_X3_I0+3], v[vgprValuB_X3_I0_D3+0], v[vgprValuB_X3_I0_D2+0], s[sgprPackKForV1] // select K=23 for vector=1
v_mfma_f32_16x16x16_f16 a[12+0:15+0], v[vgprValuB_X3_I0+0+0+0:vgprValuB_X3_I0+0+0+0+1], v[vgprValuA_X7_I0+6+0+0:vgprValuA_X7_I0+6+0+0+1], a[12:15]
/*  mfmaIndex:100  */
/* pack scheduling: packAIdx:8, packBIdx:4 */
v_perm_b32 v[vgprValuB_X3_I0+4], v[vgprValuB_X3_I0_D1+1], v[vgprValuB_X3_I0_D0+1], s[sgprPackKForV0] // select K=01 for vector=0
v_perm_b32 v[vgprValuB_X3_I0+5], v[vgprValuB_X3_I0_D3+1], v[vgprValuB_X3_I0_D2+1], s[sgprPackKForV0] // select K=23 for vector=0
v_mfma_f32_16x16x16_f16 a[28+0:31+0], v[vgprValuB_X3_I0+2+0+0:vgprValuB_X3_I0+2+0+0+1], v[vgprValuA_X7_I0+6+0+0:vgprValuA_X7_I0+6+0+0+1], a[28:31]
/*  mfmaIndex:101  */
/* pack scheduling: packAIdx:8, packBIdx:4 */
v_perm_b32 v[vgprValuB_X3_I0+6], v[vgprValuB_X3_I0_D1+1], v[vgprValuB_X3_I0_D0+1], s[sgprPackKForV1] // select K=01 for vector=1
v_perm_b32 v[vgprValuB_X3_I0+7], v[vgprValuB_X3_I0_D3+1], v[vgprValuB_X3_I0_D2+1], s[sgprPackKForV1] // select K=23 for vector=1
v_mfma_f32_16x16x16_f16 a[24+0:27+0], v[vgprValuB_X3_I0+2+0+0:vgprValuB_X3_I0+2+0+0+1], v[vgprValuA_X7_I0+4+0+0:vgprValuA_X7_I0+4+0+0+1], a[24:27]
/*  mfmaIndex:102  */
/* pack scheduling: packAIdx:8, packBIdx:4 */
v_perm_b32 v[vgprValuB_X3_I0+8], v[vgprValuB_X3_I0_D1+2], v[vgprValuB_X3_I0_D0+2], s[sgprPackKForV0] // select K=01 for vector=0
v_perm_b32 v[vgprValuB_X3_I0+9], v[vgprValuB_X3_I0_D3+2], v[vgprValuB_X3_I0_D2+2], s[sgprPackKForV0] // select K=23 for vector=0
	;; [unrolled: 10-line block ×3, first 2 shown]
v_mfma_f32_16x16x16_f16 a[32+0:35+0], v[vgprValuB_X3_I0+4+0+0:vgprValuB_X3_I0+4+0+0+1], v[vgprValuA_X7_I0+0+0+0:vgprValuA_X7_I0+0+0+0+1], a[32:35]
/*  mfmaIndex:105  */
/* pack scheduling: packAIdx:8, packBIdx:6 */
v_perm_b32 v[vgprValuB_X3_I0+14], v[vgprValuB_X3_I0_D1+3], v[vgprValuB_X3_I0_D0+3], s[sgprPackKForV1] // select K=01 for vector=1
v_perm_b32 v[vgprValuB_X3_I0+15], v[vgprValuB_X3_I0_D3+3], v[vgprValuB_X3_I0_D2+3], s[sgprPackKForV1] // select K=23 for vector=1
v_mfma_f32_16x16x16_f16 a[36+0:39+0], v[vgprValuB_X3_I0+4+0+0:vgprValuB_X3_I0+4+0+0+1], v[vgprValuA_X7_I0+2+0+0:vgprValuA_X7_I0+2+0+0+1], a[36:39]
/*  mfmaIndex:106  */
v_mfma_f32_16x16x16_f16 a[40+0:43+0], v[vgprValuB_X3_I0+4+0+0:vgprValuB_X3_I0+4+0+0+1], v[vgprValuA_X7_I0+4+0+0:vgprValuA_X7_I0+4+0+0+1], a[40:43]
/*  mfmaIndex:107  */
/* 1 LDS buffer: read-sync-write */
s_waitcnt lgkmcnt(0)                               // 
s_barrier                                          // 
v_mfma_f32_16x16x16_f16 a[44+0:47+0], v[vgprValuB_X3_I0+4+0+0:vgprValuB_X3_I0+4+0+0+1], v[vgprValuA_X7_I0+6+0+0:vgprValuA_X7_I0+6+0+0+1], a[44:47]
/*  mfmaIndex:108  */
v_mfma_f32_16x16x16_f16 a[60+0:63+0], v[vgprValuB_X3_I0+6+0+0:vgprValuB_X3_I0+6+0+0+1], v[vgprValuA_X7_I0+6+0+0:vgprValuA_X7_I0+6+0+0+1], a[60:63]
/*  mfmaIndex:109  */
	;; [unrolled: 2-line block ×20, first 2 shown]
v_mfma_f32_16x16x16_f16 a[112+0:115+0], v[vgprValuB_X3_I0+14+0+0:vgprValuB_X3_I0+14+0+0+1], v[vgprValuA_X7_I0+0+0+0:vgprValuA_X7_I0+0+0+0+1], a[112:115]
/* numPrefetchIter=0 */
/* dataAtIterA=2 numReadsIterA=3 skipReadsIterA=0 readsPerIterA=1 */
/* dataAtIterB=2 numReadsIterB=3 skipReadsIterB=0 readsPerIterB=8 */

label_0017: // EvenEndNoLoadLoopOpt 

/* Stores for OptNLL */
Summation_End_OptNLL_18:
s_setprio 0                                        // optimization store
/* endSummation: add vgpr [0...194) to pool */
.set NumFullBlocks, UNDEF
.set WgmRemainder1, UNDEF
.set MagicNumberWgmRemainder1, UNDEF

/* Mapping of Acc register -> C Vgpr register */
/* computeStoreVgprs */
v_lshrrev_b32 v4, 6, v[vgprSerial]                 // v4 = v[vgprSerial] / 64
v_and_b32 v1, 63, v[vgprSerial]                    // v1 = v[vgprSerial] % 64
v_lshrrev_b32 v1, 4, v1                            // v1 = v1 / 16
v_lshlrev_b32 v1, 0x2, v1                          // thread0 * continuous_output
v_lshrrev_b32 v5, 2, v4                            // v5 = v4 / 4
v_mul_lo_u32 v5, 0x10, v5                          // wave coordination offset 1
_v_add_lshl_u32 v1, v5, v1, 2                      // coordination 1 = vwb *(wave_id1 + tid1)
v_mul_lo_u32 v2, v1, s[sgprStrideC1J]              //  offset 1
v_mul_lo_u32 v3, v1, s[sgprStrideD1J]              //  offset 1
v_and_b32 v5, 3, v4                                // v5 = v4 % 4
v_mul_lo_u32 v5, 0x10, v5                          // wave coordination offset 0
v_and_b32 v0, 15, v[vgprSerial]                    // v0 = v[vgprSerial] % 16
_v_add_lshl_u32 v0, v5, v0, 2                      // coordination 0 = vwa *(wave_id0 + tid0)
s_mul_i32 s33, 256, s[sgprWorkGroup0]              // wgp0 * MT0
_v_add_u32 v0, s33, v0                             // coord 0 = (tid0/MI_m)*4 + waveG0*MIB_m + MT0*SG0
s_mul_i32 s33, 128, s[sgprWorkGroup1]              // wgp1 * MT1
_v_add_u32 v1, s33, v1                             // coord 1 = (tid0%MI_m) + waveG1*MIB_n + MT1*SG1
GW_B0_E0_21:

/* edge=0, allocate 2 sgpr. perBatchTmpS=2 perBatchMaskS=0 perElementMaskS=0 elementsPerBatch=60 */
/* optSingleColVgpr=1 optSharedColVgpr=0 optSGPRUsage=BufferLoad_Mask optSrdIncForRow=1 */
s_sleep 3 // optimization: sync and wait
s_barrier

/******************************************/
/* Global Write Batch #0 (d1,d0,vc1,vc0) = */
/*    (0,0,0,0:vw4); (0,0,1,0:vw4); (0,0,2,0:vw4); (0,0,3,0:vw4); (0,0,4,0:vw4); (0,0,5,0:vw4); (0,0,6,0:vw4); (0,0,7,0:vw4); (0,0,8,0:vw4); (0,0,9,0:vw4); (0,0,10,0:vw4); (0,0,11,0:vw4); (0,0,12,0:vw4); (0,0,13,0:vw4); (0,0,14,0:vw4); (0,0,15,0:vw4); (1,0,0,0:vw4); (1,0,1,0:vw4); (1,0,2,0:vw4); (1,0,3,0:vw4); (1,0,4,0:vw4); (1,0,5,0:vw4); (1,0,6,0:vw4); (1,0,7,0:vw4); (1,0,8,0:vw4); (1,0,9,0:vw4); (1,0,10,0:vw4); (1,0,11,0:vw4); (1,0,12,0:vw4); (1,0,13,0:vw4); (1,0,14,0:vw4); (1,0,15,0:vw4) */
/******************************************/

/* calc coords, apply mask, and issue loads (if necessary) */
/* (d1,vc1,d0,vc0)=(0,0,0,0) */
/* (d1,vc1,d0,vc0)=(0,1,0,0) */
	;; [unrolled: 1-line block ×32, first 2 shown]
_v_add_lshl_u32 v6, v3, v0, 0x1                    // optSingleColVgpr scaleToBpe: sharedAddrVgpr <- cinRowPtr + coord0, scaled by BPE. BSHERE:coord0=0, coord0Vgpr=0
v_accvgpr_read_b32 v[vgprValuC+8], acc0 // copy acc to vreg[0]
v_accvgpr_read_b32 v[vgprValuC+9], acc4 // copy acc to vreg[1]
v_accvgpr_read_b32 v[vgprValuC+10], acc8 // copy acc to vreg[2]
v_accvgpr_read_b32 v[vgprValuC+11], acc12 // copy acc to vreg[3]
v_accvgpr_read_b32 v[vgprValuC+12], acc16 // copy acc to vreg[4]
v_accvgpr_read_b32 v[vgprValuC+13], acc20 // copy acc to vreg[5]
v_accvgpr_read_b32 v[vgprValuC+14], acc24 // copy acc to vreg[6]
v_accvgpr_read_b32 v[vgprValuC+15], acc28 // copy acc to vreg[7]
v_accvgpr_read_b32 v[vgprValuC+16], acc32 // copy acc to vreg[8]
v_accvgpr_read_b32 v[vgprValuC+17], acc36 // copy acc to vreg[9]
v_accvgpr_read_b32 v[vgprValuC+18], acc40 // copy acc to vreg[10]
v_accvgpr_read_b32 v[vgprValuC+19], acc44 // copy acc to vreg[11]
v_accvgpr_read_b32 v[vgprValuC+20], acc48 // copy acc to vreg[12]
v_accvgpr_read_b32 v[vgprValuC+21], acc52 // copy acc to vreg[13]
v_accvgpr_read_b32 v[vgprValuC+22], acc56 // copy acc to vreg[14]
v_accvgpr_read_b32 v[vgprValuC+23], acc60 // copy acc to vreg[15]
v_accvgpr_read_b32 v[vgprValuC+24], acc1 // copy acc to vreg[16]
v_accvgpr_read_b32 v[vgprValuC+25], acc5 // copy acc to vreg[17]
v_accvgpr_read_b32 v[vgprValuC+26], acc9 // copy acc to vreg[18]
v_accvgpr_read_b32 v[vgprValuC+27], acc13 // copy acc to vreg[19]
v_accvgpr_read_b32 v[vgprValuC+28], acc17 // copy acc to vreg[20]
v_accvgpr_read_b32 v[vgprValuC+29], acc21 // copy acc to vreg[21]
v_accvgpr_read_b32 v[vgprValuC+30], acc25 // copy acc to vreg[22]
v_accvgpr_read_b32 v[vgprValuC+31], acc29 // copy acc to vreg[23]
v_accvgpr_read_b32 v[vgprValuC+32], acc33 // copy acc to vreg[24]
v_accvgpr_read_b32 v[vgprValuC+33], acc37 // copy acc to vreg[25]
v_accvgpr_read_b32 v[vgprValuC+34], acc41 // copy acc to vreg[26]
v_accvgpr_read_b32 v[vgprValuC+35], acc45 // copy acc to vreg[27]
v_accvgpr_read_b32 v[vgprValuC+36], acc49 // copy acc to vreg[28]
v_accvgpr_read_b32 v[vgprValuC+37], acc53 // copy acc to vreg[29]
v_accvgpr_read_b32 v[vgprValuC+38], acc57 // copy acc to vreg[30]
v_accvgpr_read_b32 v[vgprValuC+39], acc61 // copy acc to vreg[31]
v_accvgpr_read_b32 v[vgprValuC+40], acc2 // copy acc to vreg[32]
v_accvgpr_read_b32 v[vgprValuC+41], acc6 // copy acc to vreg[33]
v_accvgpr_read_b32 v[vgprValuC+42], acc10 // copy acc to vreg[34]
v_accvgpr_read_b32 v[vgprValuC+43], acc14 // copy acc to vreg[35]
v_accvgpr_read_b32 v[vgprValuC+44], acc18 // copy acc to vreg[36]
v_accvgpr_read_b32 v[vgprValuC+45], acc22 // copy acc to vreg[37]
v_accvgpr_read_b32 v[vgprValuC+46], acc26 // copy acc to vreg[38]
v_accvgpr_read_b32 v[vgprValuC+47], acc30 // copy acc to vreg[39]
v_accvgpr_read_b32 v[vgprValuC+48], acc34 // copy acc to vreg[40]
v_accvgpr_read_b32 v[vgprValuC+49], acc38 // copy acc to vreg[41]
v_accvgpr_read_b32 v[vgprValuC+50], acc42 // copy acc to vreg[42]
v_accvgpr_read_b32 v[vgprValuC+51], acc46 // copy acc to vreg[43]
v_accvgpr_read_b32 v[vgprValuC+52], acc50 // copy acc to vreg[44]
v_accvgpr_read_b32 v[vgprValuC+53], acc54 // copy acc to vreg[45]
v_accvgpr_read_b32 v[vgprValuC+54], acc58 // copy acc to vreg[46]
v_accvgpr_read_b32 v[vgprValuC+55], acc62 // copy acc to vreg[47]
v_accvgpr_read_b32 v[vgprValuC+56], acc3 // copy acc to vreg[48]
v_accvgpr_read_b32 v[vgprValuC+57], acc7 // copy acc to vreg[49]
v_accvgpr_read_b32 v[vgprValuC+58], acc11 // copy acc to vreg[50]
v_accvgpr_read_b32 v[vgprValuC+59], acc15 // copy acc to vreg[51]
v_accvgpr_read_b32 v[vgprValuC+60], acc19 // copy acc to vreg[52]
v_accvgpr_read_b32 v[vgprValuC+61], acc23 // copy acc to vreg[53]
v_accvgpr_read_b32 v[vgprValuC+62], acc27 // copy acc to vreg[54]
v_accvgpr_read_b32 v[vgprValuC+63], acc31 // copy acc to vreg[55]
v_accvgpr_read_b32 v[vgprValuC+64], acc35 // copy acc to vreg[56]
v_accvgpr_read_b32 v[vgprValuC+65], acc39 // copy acc to vreg[57]
v_accvgpr_read_b32 v[vgprValuC+66], acc43 // copy acc to vreg[58]
v_accvgpr_read_b32 v[vgprValuC+67], acc47 // copy acc to vreg[59]
v_accvgpr_read_b32 v[vgprValuC+68], acc51 // copy acc to vreg[60]
v_accvgpr_read_b32 v[vgprValuC+69], acc55 // copy acc to vreg[61]
v_accvgpr_read_b32 v[vgprValuC+70], acc59 // copy acc to vreg[62]
v_accvgpr_read_b32 v[vgprValuC+71], acc63 // copy acc to vreg[63]
v_accvgpr_read_b32 v[vgprValuC+72], acc64 // copy acc to vreg[64]
v_accvgpr_read_b32 v[vgprValuC+73], acc68 // copy acc to vreg[65]
v_accvgpr_read_b32 v[vgprValuC+74], acc72 // copy acc to vreg[66]
v_accvgpr_read_b32 v[vgprValuC+75], acc76 // copy acc to vreg[67]
v_accvgpr_read_b32 v[vgprValuC+76], acc80 // copy acc to vreg[68]
v_accvgpr_read_b32 v[vgprValuC+77], acc84 // copy acc to vreg[69]
v_accvgpr_read_b32 v[vgprValuC+78], acc88 // copy acc to vreg[70]
v_accvgpr_read_b32 v[vgprValuC+79], acc92 // copy acc to vreg[71]
v_accvgpr_read_b32 v[vgprValuC+80], acc96 // copy acc to vreg[72]
v_accvgpr_read_b32 v[vgprValuC+81], acc100 // copy acc to vreg[73]
v_accvgpr_read_b32 v[vgprValuC+82], acc104 // copy acc to vreg[74]
v_accvgpr_read_b32 v[vgprValuC+83], acc108 // copy acc to vreg[75]
v_accvgpr_read_b32 v[vgprValuC+84], acc112 // copy acc to vreg[76]
v_accvgpr_read_b32 v[vgprValuC+85], acc116 // copy acc to vreg[77]
v_accvgpr_read_b32 v[vgprValuC+86], acc120 // copy acc to vreg[78]
v_accvgpr_read_b32 v[vgprValuC+87], acc124 // copy acc to vreg[79]
v_accvgpr_read_b32 v[vgprValuC+88], acc65 // copy acc to vreg[80]
v_accvgpr_read_b32 v[vgprValuC+89], acc69 // copy acc to vreg[81]
v_accvgpr_read_b32 v[vgprValuC+90], acc73 // copy acc to vreg[82]
v_accvgpr_read_b32 v[vgprValuC+91], acc77 // copy acc to vreg[83]
v_accvgpr_read_b32 v[vgprValuC+92], acc81 // copy acc to vreg[84]
v_accvgpr_read_b32 v[vgprValuC+93], acc85 // copy acc to vreg[85]
v_accvgpr_read_b32 v[vgprValuC+94], acc89 // copy acc to vreg[86]
v_accvgpr_read_b32 v[vgprValuC+95], acc93 // copy acc to vreg[87]
v_accvgpr_read_b32 v[vgprValuC+96], acc97 // copy acc to vreg[88]
v_accvgpr_read_b32 v[vgprValuC+97], acc101 // copy acc to vreg[89]
v_accvgpr_read_b32 v[vgprValuC+98], acc105 // copy acc to vreg[90]
v_accvgpr_read_b32 v[vgprValuC+99], acc109 // copy acc to vreg[91]
v_accvgpr_read_b32 v[vgprValuC+100], acc113 // copy acc to vreg[92]
v_accvgpr_read_b32 v[vgprValuC+101], acc117 // copy acc to vreg[93]
v_accvgpr_read_b32 v[vgprValuC+102], acc121 // copy acc to vreg[94]
v_accvgpr_read_b32 v[vgprValuC+103], acc125 // copy acc to vreg[95]
v_accvgpr_read_b32 v[vgprValuC+104], acc66 // copy acc to vreg[96]
v_accvgpr_read_b32 v[vgprValuC+105], acc70 // copy acc to vreg[97]
v_accvgpr_read_b32 v[vgprValuC+106], acc74 // copy acc to vreg[98]
v_accvgpr_read_b32 v[vgprValuC+107], acc78 // copy acc to vreg[99]
v_accvgpr_read_b32 v[vgprValuC+108], acc82 // copy acc to vreg[100]
v_accvgpr_read_b32 v[vgprValuC+109], acc86 // copy acc to vreg[101]
v_accvgpr_read_b32 v[vgprValuC+110], acc90 // copy acc to vreg[102]
v_accvgpr_read_b32 v[vgprValuC+111], acc94 // copy acc to vreg[103]
v_accvgpr_read_b32 v[vgprValuC+112], acc98 // copy acc to vreg[104]
v_accvgpr_read_b32 v[vgprValuC+113], acc102 // copy acc to vreg[105]
v_accvgpr_read_b32 v[vgprValuC+114], acc106 // copy acc to vreg[106]
v_accvgpr_read_b32 v[vgprValuC+115], acc110 // copy acc to vreg[107]
v_accvgpr_read_b32 v[vgprValuC+116], acc114 // copy acc to vreg[108]
v_accvgpr_read_b32 v[vgprValuC+117], acc118 // copy acc to vreg[109]
v_accvgpr_read_b32 v[vgprValuC+118], acc122 // copy acc to vreg[110]
v_accvgpr_read_b32 v[vgprValuC+119], acc126 // copy acc to vreg[111]
v_accvgpr_read_b32 v[vgprValuC+120], acc67 // copy acc to vreg[112]
v_accvgpr_read_b32 v[vgprValuC+121], acc71 // copy acc to vreg[113]
v_accvgpr_read_b32 v[vgprValuC+122], acc75 // copy acc to vreg[114]
v_accvgpr_read_b32 v[vgprValuC+123], acc79 // copy acc to vreg[115]
v_accvgpr_read_b32 v[vgprValuC+124], acc83 // copy acc to vreg[116]
v_accvgpr_read_b32 v[vgprValuC+125], acc87 // copy acc to vreg[117]
v_accvgpr_read_b32 v[vgprValuC+126], acc91 // copy acc to vreg[118]
v_accvgpr_read_b32 v[vgprValuC+127], acc95 // copy acc to vreg[119]
v_accvgpr_read_b32 v[vgprValuC+128], acc99 // copy acc to vreg[120]
v_accvgpr_read_b32 v[vgprValuC+129], acc103 // copy acc to vreg[121]
v_accvgpr_read_b32 v[vgprValuC+130], acc107 // copy acc to vreg[122]
v_accvgpr_read_b32 v[vgprValuC+131], acc111 // copy acc to vreg[123]
v_accvgpr_read_b32 v[vgprValuC+132], acc115 // copy acc to vreg[124]
v_accvgpr_read_b32 v[vgprValuC+133], acc119 // copy acc to vreg[125]
v_accvgpr_read_b32 v[vgprValuC+134], acc123 // copy acc to vreg[126]
v_accvgpr_read_b32 v[vgprValuC+135], acc127 // copy acc to vreg[127]
s_nop 1                                            // 2 wait states required before reading vgpr

/* apply mask, calc new C and issue writes */
v_cvt_f16_f32 v[vgprValuC+8], v[vgprValuC+8]       // convert C to fp16
v_cvt_f16_f32 v[vgprValuC+9], v[vgprValuC+9]       // convert C to fp16
v_pack_b32_f16 v8, v[vgprValuC+8], v[vgprValuC+9]  // Pack with neighbor
v_cvt_f16_f32 v[vgprValuC+10], v[vgprValuC+10]     // convert C to fp16
v_cvt_f16_f32 v[vgprValuC+11], v[vgprValuC+11]     // convert C to fp16
v_pack_b32_f16 v9, v[vgprValuC+10], v[vgprValuC+11] // Pack with neighbor
_buffer_store_b64 v[8:9], v6, s[sgprSrdD:sgprSrdD+3], 0, offen, offset:0,  sc0 // store D
v_cvt_f16_f32 v[vgprValuC+12], v[vgprValuC+12]     // convert C to fp16
v_cvt_f16_f32 v[vgprValuC+13], v[vgprValuC+13]     // convert C to fp16
v_pack_b32_f16 v12, v[vgprValuC+12], v[vgprValuC+13] // Pack with neighbor
v_cvt_f16_f32 v[vgprValuC+14], v[vgprValuC+14]     // convert C to fp16
v_cvt_f16_f32 v[vgprValuC+15], v[vgprValuC+15]     // convert C to fp16
v_pack_b32_f16 v13, v[vgprValuC+14], v[vgprValuC+15] // Pack with neighbor
s_lshl_b32  s34, s[sgprStrideD1J], 1               // incToNextRow: Scale by BPE
s_add_u32  s[sgprSrdD+0], s[sgprSrdD+0], s34       // incToNextRow: gra SRD += inc(lower)
s_addc_u32  s[sgprSrdD+1], s[sgprSrdD+1], 0        // incToNextRow: gra SRD += inc(upper)
_buffer_store_b64 v[12:13], v6, s[sgprSrdD:sgprSrdD+3], 0, offen, offset:0,  sc0 // store D
v_cvt_f16_f32 v[vgprValuC+16], v[vgprValuC+16]     // convert C to fp16
v_cvt_f16_f32 v[vgprValuC+17], v[vgprValuC+17]     // convert C to fp16
v_pack_b32_f16 v16, v[vgprValuC+16], v[vgprValuC+17] // Pack with neighbor
v_cvt_f16_f32 v[vgprValuC+18], v[vgprValuC+18]     // convert C to fp16
v_cvt_f16_f32 v[vgprValuC+19], v[vgprValuC+19]     // convert C to fp16
v_pack_b32_f16 v17, v[vgprValuC+18], v[vgprValuC+19] // Pack with neighbor
s_lshl_b32  s34, s[sgprStrideD1J], 1               // incToNextRow: Scale by BPE
s_add_u32  s[sgprSrdD+0], s[sgprSrdD+0], s34       // incToNextRow: gra SRD += inc(lower)
s_addc_u32  s[sgprSrdD+1], s[sgprSrdD+1], 0        // incToNextRow: gra SRD += inc(upper)
	;; [unrolled: 10-line block ×15, first 2 shown]
_buffer_store_b64 v[68:69], v6, s[sgprSrdD:sgprSrdD+3], 0, offen, offset:0,  sc0 // store D
v_cvt_f16_f32 v[vgprValuC+72], v[vgprValuC+72]     // convert C to fp16
v_cvt_f16_f32 v[vgprValuC+73], v[vgprValuC+73]     // convert C to fp16
v_pack_b32_f16 v72, v[vgprValuC+72], v[vgprValuC+73] // Pack with neighbor
v_cvt_f16_f32 v[vgprValuC+74], v[vgprValuC+74]     // convert C to fp16
v_cvt_f16_f32 v[vgprValuC+75], v[vgprValuC+75]     // convert C to fp16
v_pack_b32_f16 v73, v[vgprValuC+74], v[vgprValuC+75] // Pack with neighbor
s_mul_i32 s34, s[sgprStrideD1J], 98                // scale StrideD *= numRows(49) * bpe
s_add_u32  s[sgprSrdD+0], s[sgprSrdD+0], s34       // incToNextRow: gra SRD += inc(lower)
s_addc_u32  s[sgprSrdD+1], s[sgprSrdD+1], 0        // incToNextRow: gra SRD += inc(upper)
_buffer_store_b64 v[72:73], v6, s[sgprSrdD:sgprSrdD+3], 0, offen, offset:0,  sc0 // store D
v_cvt_f16_f32 v[vgprValuC+76], v[vgprValuC+76]     // convert C to fp16
v_cvt_f16_f32 v[vgprValuC+77], v[vgprValuC+77]     // convert C to fp16
v_pack_b32_f16 v76, v[vgprValuC+76], v[vgprValuC+77] // Pack with neighbor
v_cvt_f16_f32 v[vgprValuC+78], v[vgprValuC+78]     // convert C to fp16
v_cvt_f16_f32 v[vgprValuC+79], v[vgprValuC+79]     // convert C to fp16
v_pack_b32_f16 v77, v[vgprValuC+78], v[vgprValuC+79] // Pack with neighbor
s_lshl_b32  s34, s[sgprStrideD1J], 1               // incToNextRow: Scale by BPE
s_add_u32  s[sgprSrdD+0], s[sgprSrdD+0], s34       // incToNextRow: gra SRD += inc(lower)
s_addc_u32  s[sgprSrdD+1], s[sgprSrdD+1], 0        // incToNextRow: gra SRD += inc(upper)
_buffer_store_b64 v[76:77], v6, s[sgprSrdD:sgprSrdD+3], 0, offen, offset:0,  sc0 // store D
v_cvt_f16_f32 v[vgprValuC+80], v[vgprValuC+80]     // convert C to fp16
v_cvt_f16_f32 v[vgprValuC+81], v[vgprValuC+81]     // convert C to fp16
v_pack_b32_f16 v80, v[vgprValuC+80], v[vgprValuC+81] // Pack with neighbor
v_cvt_f16_f32 v[vgprValuC+82], v[vgprValuC+82]     // convert C to fp16
v_cvt_f16_f32 v[vgprValuC+83], v[vgprValuC+83]     // convert C to fp16
v_pack_b32_f16 v81, v[vgprValuC+82], v[vgprValuC+83] // Pack with neighbor
s_lshl_b32  s34, s[sgprStrideD1J], 1               // incToNextRow: Scale by BPE
	;; [unrolled: 10-line block ×6, first 2 shown]
s_add_u32  s[sgprSrdD+0], s[sgprSrdD+0], s34       // incToNextRow: gra SRD += inc(lower)
s_addc_u32  s[sgprSrdD+1], s[sgprSrdD+1], 0        // incToNextRow: gra SRD += inc(upper)
_buffer_store_b64 v[96:97], v6, s[sgprSrdD:sgprSrdD+3], 0, offen, offset:0,  sc0 // store D
v_cvt_f16_f32 v[vgprValuC+100], v[vgprValuC+100]   // convert C to fp16
v_cvt_f16_f32 v[vgprValuC+101], v[vgprValuC+101]   // convert C to fp16
v_pack_b32_f16 v100, v[vgprValuC+100], v[vgprValuC+101] // Pack with neighbor
v_cvt_f16_f32 v[vgprValuC+102], v[vgprValuC+102]   // convert C to fp16
v_cvt_f16_f32 v[vgprValuC+103], v[vgprValuC+103]   // convert C to fp16
v_pack_b32_f16 v101, v[vgprValuC+102], v[vgprValuC+103] // Pack with neighbor
s_lshl_b32  s34, s[sgprStrideD1J], 1               // incToNextRow: Scale by BPE
s_add_u32  s[sgprSrdD+0], s[sgprSrdD+0], s34       // incToNextRow: gra SRD += inc(lower)
s_addc_u32  s[sgprSrdD+1], s[sgprSrdD+1], 0        // incToNextRow: gra SRD += inc(upper)
_buffer_store_b64 v[100:101], v6, s[sgprSrdD:sgprSrdD+3], 0, offen, offset:0,  sc0 // store D
v_cvt_f16_f32 v[vgprValuC+104], v[vgprValuC+104]   // convert C to fp16
v_cvt_f16_f32 v[vgprValuC+105], v[vgprValuC+105]   // convert C to fp16
v_pack_b32_f16 v104, v[vgprValuC+104], v[vgprValuC+105] // Pack with neighbor
v_cvt_f16_f32 v[vgprValuC+106], v[vgprValuC+106]   // convert C to fp16
v_cvt_f16_f32 v[vgprValuC+107], v[vgprValuC+107]   // convert C to fp16
v_pack_b32_f16 v105, v[vgprValuC+106], v[vgprValuC+107] // Pack with neighbor
s_lshl_b32  s34, s[sgprStrideD1J], 1               // incToNextRow: Scale by BPE
	;; [unrolled: 10-line block ×9, first 2 shown]
s_add_u32  s[sgprSrdD+0], s[sgprSrdD+0], s34       // incToNextRow: gra SRD += inc(lower)
s_addc_u32  s[sgprSrdD+1], s[sgprSrdD+1], 0        // incToNextRow: gra SRD += inc(upper)
_buffer_store_b64 v[132:133], v6, s[sgprSrdD:sgprSrdD+3], 0, offen, offset:0,  sc0 // store D
s_nop 0                                            // 1 wait state required when next inst writes vgprs held by previous dwordx4 store inst
s_branch label_GW_End_23                           // jump to end
label_GW_End_23:

s_endpgm                                           // Kernel End
OptNLL_End_15:


/******************************************/
/* Ord. NoLoadLoop - Begin                                      */
/******************************************/


s_and_b32 s33, s[sgprOrigLoopCounter], 1           // test if OrigLoopCounter is Odd ?
s_cbranch_scc0 label_0028                          // Skip odd code if OrigLoopCounter is Even


	;; [unrolled: 1-line block ×3, first 2 shown]
/* iter 0 (last unrolled loop) */

s_waitcnt vmcnt(12)                                // lgkmcnt=-1 vmcnt=12global read wait for DirectToVgpr

/*  grEndMfmaIndex:0, lwStartMfmaIndex:108, lwEndMfmaIndex:108  */
/*  numMfmaForLR:13, barrierMfmaIndex:114 */
/*  mfmaIndex:0  */
s_waitcnt lgkmcnt(0)                               // lgkmcnt=0 vmcnt=-1wait for prior local read local write old=0, new=0 newLW=0 newLR=0
/* pack scheduling: packAIdx:2, packBIdx:2 */
v_perm_b32 v[vgprValuA_X0_I0+0], v[vgprValuA_X0_I0_D1+0], v[vgprValuA_X0_I0_D0+0], s[sgprPackKForV0] // select K=01 for vector=0
v_perm_b32 v[vgprValuA_X0_I0+1], v[vgprValuA_X0_I0_D3+0], v[vgprValuA_X0_I0_D2+0], s[sgprPackKForV0] // select K=23 for vector=0
v_perm_b32 v[vgprValuB_X0_I0+0], v[vgprValuB_X0_I0_D1+0], v[vgprValuB_X0_I0_D0+0], s[sgprPackKForV0] // select K=01 for vector=0
v_perm_b32 v[vgprValuB_X0_I0+1], v[vgprValuB_X0_I0_D3+0], v[vgprValuB_X0_I0_D2+0], s[sgprPackKForV0] // select K=23 for vector=0
v_perm_b32 v[vgprValuA_X0_I0+2], v[vgprValuA_X0_I0_D1+0], v[vgprValuA_X0_I0_D0+0], s[sgprPackKForV1] // select K=01 for vector=1
v_perm_b32 v[vgprValuA_X0_I0+3], v[vgprValuA_X0_I0_D3+0], v[vgprValuA_X0_I0_D2+0], s[sgprPackKForV1] // select K=23 for vector=1
v_mfma_f32_16x16x16_f16 a[0+0:3+0], v[vgprValuB_X0_I0+0+0+0:vgprValuB_X0_I0+0+0+0+1], v[vgprValuA_X0_I0+0+0+0:vgprValuA_X0_I0+0+0+0+1], a[0:3]
/*  mfmaIndex:1  */
_ds_load_b64 v[vgprValuB_X1_I0_D0+0:vgprValuB_X1_I0_D0+0+1], v[vgprLocalReadAddrB] offset:4096 // L -> Reg lro=2048 swapByteOffset=0 ti=64 vIdx=0 rIdx=0 oIdx=0 buffer=1 iui=0
s_setprio 3                                        // store optimization
/* pack scheduling: packAIdx:4, packBIdx:2 */
v_perm_b32 v[vgprValuA_X0_I0+4], v[vgprValuA_X0_I0_D1+1], v[vgprValuA_X0_I0_D0+1], s[sgprPackKForV0] // select K=01 for vector=0
v_perm_b32 v[vgprValuA_X0_I0+5], v[vgprValuA_X0_I0_D3+1], v[vgprValuA_X0_I0_D2+1], s[sgprPackKForV0] // select K=23 for vector=0
v_mfma_f32_16x16x16_f16 a[4+0:7+0], v[vgprValuB_X0_I0+0+0+0:vgprValuB_X0_I0+0+0+0+1], v[vgprValuA_X0_I0+2+0+0:vgprValuA_X0_I0+2+0+0+1], a[4:7]
/*  mfmaIndex:2  */
_ds_load_b64 v[vgprValuB_X1_I0_D1+0:vgprValuB_X1_I0_D1+0+1], v[vgprLocalReadAddrB] offset:4352 // L -> Reg lro=2048 swapByteOffset=0 ti=64 vIdx=0 rIdx=1 oIdx=0 buffer=1 iui=0
/* pack scheduling: packAIdx:6, packBIdx:2 */
v_perm_b32 v[vgprValuA_X0_I0+6], v[vgprValuA_X0_I0_D1+1], v[vgprValuA_X0_I0_D0+1], s[sgprPackKForV1] // select K=01 for vector=1
v_perm_b32 v[vgprValuA_X0_I0+7], v[vgprValuA_X0_I0_D3+1], v[vgprValuA_X0_I0_D2+1], s[sgprPackKForV1] // select K=23 for vector=1
v_mfma_f32_16x16x16_f16 a[8+0:11+0], v[vgprValuB_X0_I0+0+0+0:vgprValuB_X0_I0+0+0+0+1], v[vgprValuA_X0_I0+4+0+0:vgprValuA_X0_I0+4+0+0+1], a[8:11]
/*  mfmaIndex:3  */
_ds_load_b64 v[vgprValuB_X1_I0_D2+0:vgprValuB_X1_I0_D2+0+1], v[vgprLocalReadAddrB] offset:4608 // L -> Reg lro=2048 swapByteOffset=0 ti=64 vIdx=0 rIdx=2 oIdx=0 buffer=1 iui=0
/* pack scheduling: packAIdx:8, packBIdx:2 */
v_perm_b32 v[vgprValuB_X0_I0+2], v[vgprValuB_X0_I0_D1+0], v[vgprValuB_X0_I0_D0+0], s[sgprPackKForV1] // select K=01 for vector=1
v_perm_b32 v[vgprValuB_X0_I0+3], v[vgprValuB_X0_I0_D3+0], v[vgprValuB_X0_I0_D2+0], s[sgprPackKForV1] // select K=23 for vector=1
v_mfma_f32_16x16x16_f16 a[12+0:15+0], v[vgprValuB_X0_I0+0+0+0:vgprValuB_X0_I0+0+0+0+1], v[vgprValuA_X0_I0+6+0+0:vgprValuA_X0_I0+6+0+0+1], a[12:15]
/*  mfmaIndex:4  */
_ds_load_b64 v[vgprValuB_X1_I0_D3+0:vgprValuB_X1_I0_D3+0+1], v[vgprLocalReadAddrB] offset:4864 // L -> Reg lro=2048 swapByteOffset=0 ti=64 vIdx=0 rIdx=3 oIdx=0 buffer=1 iui=0
/* pack scheduling: packAIdx:8, packBIdx:4 */
v_perm_b32 v[vgprValuB_X0_I0+4], v[vgprValuB_X0_I0_D1+1], v[vgprValuB_X0_I0_D0+1], s[sgprPackKForV0] // select K=01 for vector=0
v_perm_b32 v[vgprValuB_X0_I0+5], v[vgprValuB_X0_I0_D3+1], v[vgprValuB_X0_I0_D2+1], s[sgprPackKForV0] // select K=23 for vector=0
v_mfma_f32_16x16x16_f16 a[28+0:31+0], v[vgprValuB_X0_I0+2+0+0:vgprValuB_X0_I0+2+0+0+1], v[vgprValuA_X0_I0+6+0+0:vgprValuA_X0_I0+6+0+0+1], a[28:31]
/*  mfmaIndex:5  */
_ds_load_b64 v[vgprValuB_X1_I0_D0+2:vgprValuB_X1_I0_D0+2+1], v[vgprLocalReadAddrB] offset:4224 // L -> Reg lro=2048 swapByteOffset=0 ti=64 vIdx=1 rIdx=0 oIdx=0 buffer=1 iui=0
/* pack scheduling: packAIdx:8, packBIdx:4 */
v_perm_b32 v[vgprValuB_X0_I0+6], v[vgprValuB_X0_I0_D1+1], v[vgprValuB_X0_I0_D0+1], s[sgprPackKForV1] // select K=01 for vector=1
v_perm_b32 v[vgprValuB_X0_I0+7], v[vgprValuB_X0_I0_D3+1], v[vgprValuB_X0_I0_D2+1], s[sgprPackKForV1] // select K=23 for vector=1
v_mfma_f32_16x16x16_f16 a[24+0:27+0], v[vgprValuB_X0_I0+2+0+0:vgprValuB_X0_I0+2+0+0+1], v[vgprValuA_X0_I0+4+0+0:vgprValuA_X0_I0+4+0+0+1], a[24:27]
/*  mfmaIndex:6  */
_ds_load_b64 v[vgprValuB_X1_I0_D1+2:vgprValuB_X1_I0_D1+2+1], v[vgprLocalReadAddrB] offset:4480 // L -> Reg lro=2048 swapByteOffset=0 ti=64 vIdx=1 rIdx=1 oIdx=0 buffer=1 iui=0
/* pack scheduling: packAIdx:8, packBIdx:4 */
v_perm_b32 v[vgprValuB_X0_I0+8], v[vgprValuB_X0_I0_D1+2], v[vgprValuB_X0_I0_D0+2], s[sgprPackKForV0] // select K=01 for vector=0
v_perm_b32 v[vgprValuB_X0_I0+9], v[vgprValuB_X0_I0_D3+2], v[vgprValuB_X0_I0_D2+2], s[sgprPackKForV0] // select K=23 for vector=0
v_mfma_f32_16x16x16_f16 a[20+0:23+0], v[vgprValuB_X0_I0+2+0+0:vgprValuB_X0_I0+2+0+0+1], v[vgprValuA_X0_I0+2+0+0:vgprValuA_X0_I0+2+0+0+1], a[20:23]
/*  mfmaIndex:7  */
_ds_load_b64 v[vgprValuB_X1_I0_D2+2:vgprValuB_X1_I0_D2+2+1], v[vgprLocalReadAddrB] offset:4736 // L -> Reg lro=2048 swapByteOffset=0 ti=64 vIdx=1 rIdx=2 oIdx=0 buffer=1 iui=0
/* pack scheduling: packAIdx:8, packBIdx:4 */
v_perm_b32 v[vgprValuB_X0_I0+10], v[vgprValuB_X0_I0_D1+2], v[vgprValuB_X0_I0_D0+2], s[sgprPackKForV1] // select K=01 for vector=1
v_perm_b32 v[vgprValuB_X0_I0+11], v[vgprValuB_X0_I0_D3+2], v[vgprValuB_X0_I0_D2+2], s[sgprPackKForV1] // select K=23 for vector=1
v_mfma_f32_16x16x16_f16 a[16+0:19+0], v[vgprValuB_X0_I0+2+0+0:vgprValuB_X0_I0+2+0+0+1], v[vgprValuA_X0_I0+0+0+0:vgprValuA_X0_I0+0+0+0+1], a[16:19]
/*  mfmaIndex:8  */
_ds_load_b64 v[vgprValuB_X1_I0_D3+2:vgprValuB_X1_I0_D3+2+1], v[vgprLocalReadAddrB] offset:4992 // L -> Reg lro=2048 swapByteOffset=0 ti=64 vIdx=1 rIdx=3 oIdx=0 buffer=1 iui=0
/* pack scheduling: packAIdx:8, packBIdx:6 */
v_perm_b32 v[vgprValuB_X0_I0+12], v[vgprValuB_X0_I0_D1+3], v[vgprValuB_X0_I0_D0+3], s[sgprPackKForV0] // select K=01 for vector=0
v_perm_b32 v[vgprValuB_X0_I0+13], v[vgprValuB_X0_I0_D3+3], v[vgprValuB_X0_I0_D2+3], s[sgprPackKForV0] // select K=23 for vector=0
v_mfma_f32_16x16x16_f16 a[32+0:35+0], v[vgprValuB_X0_I0+4+0+0:vgprValuB_X0_I0+4+0+0+1], v[vgprValuA_X0_I0+0+0+0:vgprValuA_X0_I0+0+0+0+1], a[32:35]
/*  mfmaIndex:9  */
/* localReadsVacancy: latencyLeft 2 */
_ds_load_b64 v[vgprValuB_X2_I0_D0+0:vgprValuB_X2_I0_D0+0+1], v[vgprLocalReadAddrB] offset:8192 // L -> Reg lro=4096 swapByteOffset=0 ti=64 vIdx=0 rIdx=0 oIdx=0 buffer=2 iui=0
/* pack scheduling: packAIdx:8, packBIdx:6 */
v_perm_b32 v[vgprValuB_X0_I0+14], v[vgprValuB_X0_I0_D1+3], v[vgprValuB_X0_I0_D0+3], s[sgprPackKForV1] // select K=01 for vector=1
v_perm_b32 v[vgprValuB_X0_I0+15], v[vgprValuB_X0_I0_D3+3], v[vgprValuB_X0_I0_D2+3], s[sgprPackKForV1] // select K=23 for vector=1
v_mfma_f32_16x16x16_f16 a[36+0:39+0], v[vgprValuB_X0_I0+4+0+0:vgprValuB_X0_I0+4+0+0+1], v[vgprValuA_X0_I0+2+0+0:vgprValuA_X0_I0+2+0+0+1], a[36:39]
/*  mfmaIndex:10  */
/* localReadsVacancy: latencyLeft 2 */
_ds_load_b64 v[vgprValuB_X2_I0_D1+0:vgprValuB_X2_I0_D1+0+1], v[vgprLocalReadAddrB] offset:8448 // L -> Reg lro=4096 swapByteOffset=0 ti=64 vIdx=0 rIdx=1 oIdx=0 buffer=2 iui=0
v_mfma_f32_16x16x16_f16 a[40+0:43+0], v[vgprValuB_X0_I0+4+0+0:vgprValuB_X0_I0+4+0+0+1], v[vgprValuA_X0_I0+4+0+0:vgprValuA_X0_I0+4+0+0+1], a[40:43]
/*  mfmaIndex:11  */
/* localReadsVacancy: latencyLeft 2 */
_ds_load_b64 v[vgprValuB_X2_I0_D2+0:vgprValuB_X2_I0_D2+0+1], v[vgprLocalReadAddrB] offset:8704 // L -> Reg lro=4096 swapByteOffset=0 ti=64 vIdx=0 rIdx=2 oIdx=0 buffer=2 iui=0
v_mfma_f32_16x16x16_f16 a[44+0:47+0], v[vgprValuB_X0_I0+4+0+0:vgprValuB_X0_I0+4+0+0+1], v[vgprValuA_X0_I0+6+0+0:vgprValuA_X0_I0+6+0+0+1], a[44:47]
/*  mfmaIndex:12  */
/* localReadsVacancy: latencyLeft 2 */
_ds_load_b64 v[vgprValuB_X2_I0_D3+0:vgprValuB_X2_I0_D3+0+1], v[vgprLocalReadAddrB] offset:8960 // L -> Reg lro=4096 swapByteOffset=0 ti=64 vIdx=0 rIdx=3 oIdx=0 buffer=2 iui=0
v_mfma_f32_16x16x16_f16 a[60+0:63+0], v[vgprValuB_X0_I0+6+0+0:vgprValuB_X0_I0+6+0+0+1], v[vgprValuA_X0_I0+6+0+0:vgprValuA_X0_I0+6+0+0+1], a[60:63]
/*  mfmaIndex:13  */
/* localReadsVacancy: latencyLeft 2 */
_ds_load_b64 v[vgprValuB_X2_I0_D0+2:vgprValuB_X2_I0_D0+2+1], v[vgprLocalReadAddrB] offset:8320 // L -> Reg lro=4096 swapByteOffset=0 ti=64 vIdx=1 rIdx=0 oIdx=0 buffer=2 iui=0
v_mfma_f32_16x16x16_f16 a[56+0:59+0], v[vgprValuB_X0_I0+6+0+0:vgprValuB_X0_I0+6+0+0+1], v[vgprValuA_X0_I0+4+0+0:vgprValuA_X0_I0+4+0+0+1], a[56:59]
/*  mfmaIndex:14  */
/* localReadsVacancy: latencyLeft 2 */
_ds_load_b64 v[vgprValuB_X2_I0_D1+2:vgprValuB_X2_I0_D1+2+1], v[vgprLocalReadAddrB] offset:8576 // L -> Reg lro=4096 swapByteOffset=0 ti=64 vIdx=1 rIdx=1 oIdx=0 buffer=2 iui=0
v_mfma_f32_16x16x16_f16 a[52+0:55+0], v[vgprValuB_X0_I0+6+0+0:vgprValuB_X0_I0+6+0+0+1], v[vgprValuA_X0_I0+2+0+0:vgprValuA_X0_I0+2+0+0+1], a[52:55]
/*  mfmaIndex:15  */
/* localReadsVacancy: latencyLeft 2 */
_ds_load_b64 v[vgprValuB_X2_I0_D2+2:vgprValuB_X2_I0_D2+2+1], v[vgprLocalReadAddrB] offset:8832 // L -> Reg lro=4096 swapByteOffset=0 ti=64 vIdx=1 rIdx=2 oIdx=0 buffer=2 iui=0
v_mfma_f32_16x16x16_f16 a[48+0:51+0], v[vgprValuB_X0_I0+6+0+0:vgprValuB_X0_I0+6+0+0+1], v[vgprValuA_X0_I0+0+0+0:vgprValuA_X0_I0+0+0+0+1], a[48:51]
/*  mfmaIndex:16  */
/* localReadsVacancy: latencyLeft 2 */
_ds_load_b64 v[vgprValuB_X2_I0_D3+2:vgprValuB_X2_I0_D3+2+1], v[vgprLocalReadAddrB] offset:9088 // L -> Reg lro=4096 swapByteOffset=0 ti=64 vIdx=1 rIdx=3 oIdx=0 buffer=2 iui=0
v_mfma_f32_16x16x16_f16 a[64+0:67+0], v[vgprValuB_X0_I0+8+0+0:vgprValuB_X0_I0+8+0+0+1], v[vgprValuA_X0_I0+0+0+0:vgprValuA_X0_I0+0+0+0+1], a[64:67]
/*  mfmaIndex:17  */
/* localReadsVacancy: latencyLeft 2 */
_ds_load_b64 v[vgprValuB_X3_I0_D0+0:vgprValuB_X3_I0_D0+0+1], v[vgprLocalReadAddrB] offset:12288 // L -> Reg lro=6144 swapByteOffset=0 ti=64 vIdx=0 rIdx=0 oIdx=0 buffer=3 iui=0
v_mfma_f32_16x16x16_f16 a[68+0:71+0], v[vgprValuB_X0_I0+8+0+0:vgprValuB_X0_I0+8+0+0+1], v[vgprValuA_X0_I0+2+0+0:vgprValuA_X0_I0+2+0+0+1], a[68:71]
/*  mfmaIndex:18  */
/* localReadsVacancy: latencyLeft 2 */
_ds_load_b64 v[vgprValuB_X3_I0_D1+0:vgprValuB_X3_I0_D1+0+1], v[vgprLocalReadAddrB] offset:12544 // L -> Reg lro=6144 swapByteOffset=0 ti=64 vIdx=0 rIdx=1 oIdx=0 buffer=3 iui=0
v_mfma_f32_16x16x16_f16 a[72+0:75+0], v[vgprValuB_X0_I0+8+0+0:vgprValuB_X0_I0+8+0+0+1], v[vgprValuA_X0_I0+4+0+0:vgprValuA_X0_I0+4+0+0+1], a[72:75]
/*  mfmaIndex:19  */
/* localReadsVacancy: latencyLeft 2 */
_ds_load_b64 v[vgprValuB_X3_I0_D2+0:vgprValuB_X3_I0_D2+0+1], v[vgprLocalReadAddrB] offset:12800 // L -> Reg lro=6144 swapByteOffset=0 ti=64 vIdx=0 rIdx=2 oIdx=0 buffer=3 iui=0
v_mfma_f32_16x16x16_f16 a[76+0:79+0], v[vgprValuB_X0_I0+8+0+0:vgprValuB_X0_I0+8+0+0+1], v[vgprValuA_X0_I0+6+0+0:vgprValuA_X0_I0+6+0+0+1], a[76:79]
/*  mfmaIndex:20  */
/* localReadsVacancy: latencyLeft 2 */
_ds_load_b64 v[vgprValuB_X3_I0_D3+0:vgprValuB_X3_I0_D3+0+1], v[vgprLocalReadAddrB] offset:13056 // L -> Reg lro=6144 swapByteOffset=0 ti=64 vIdx=0 rIdx=3 oIdx=0 buffer=3 iui=0
v_mfma_f32_16x16x16_f16 a[92+0:95+0], v[vgprValuB_X0_I0+10+0+0:vgprValuB_X0_I0+10+0+0+1], v[vgprValuA_X0_I0+6+0+0:vgprValuA_X0_I0+6+0+0+1], a[92:95]
/*  mfmaIndex:21  */
/* localReadsVacancy: latencyLeft 2 */
_ds_load_b64 v[vgprValuB_X3_I0_D0+2:vgprValuB_X3_I0_D0+2+1], v[vgprLocalReadAddrB] offset:12416 // L -> Reg lro=6144 swapByteOffset=0 ti=64 vIdx=1 rIdx=0 oIdx=0 buffer=3 iui=0
v_mfma_f32_16x16x16_f16 a[88+0:91+0], v[vgprValuB_X0_I0+10+0+0:vgprValuB_X0_I0+10+0+0+1], v[vgprValuA_X0_I0+4+0+0:vgprValuA_X0_I0+4+0+0+1], a[88:91]
/*  mfmaIndex:22  */
/* localReadsVacancy: latencyLeft 2 */
_ds_load_b64 v[vgprValuB_X3_I0_D1+2:vgprValuB_X3_I0_D1+2+1], v[vgprLocalReadAddrB] offset:12672 // L -> Reg lro=6144 swapByteOffset=0 ti=64 vIdx=1 rIdx=1 oIdx=0 buffer=3 iui=0
v_mfma_f32_16x16x16_f16 a[84+0:87+0], v[vgprValuB_X0_I0+10+0+0:vgprValuB_X0_I0+10+0+0+1], v[vgprValuA_X0_I0+2+0+0:vgprValuA_X0_I0+2+0+0+1], a[84:87]
/*  mfmaIndex:23  */
/* localReadsVacancy: latencyLeft 2 */
_ds_load_b64 v[vgprValuB_X3_I0_D2+2:vgprValuB_X3_I0_D2+2+1], v[vgprLocalReadAddrB] offset:12928 // L -> Reg lro=6144 swapByteOffset=0 ti=64 vIdx=1 rIdx=2 oIdx=0 buffer=3 iui=0
v_mfma_f32_16x16x16_f16 a[80+0:83+0], v[vgprValuB_X0_I0+10+0+0:vgprValuB_X0_I0+10+0+0+1], v[vgprValuA_X0_I0+0+0+0:vgprValuA_X0_I0+0+0+0+1], a[80:83]
/*  mfmaIndex:24  */
/* localReadsVacancy: latencyLeft 2 */
_ds_load_b64 v[vgprValuB_X3_I0_D3+2:vgprValuB_X3_I0_D3+2+1], v[vgprLocalReadAddrB] offset:13184 // L -> Reg lro=6144 swapByteOffset=0 ti=64 vIdx=1 rIdx=3 oIdx=0 buffer=3 iui=0
v_mfma_f32_16x16x16_f16 a[96+0:99+0], v[vgprValuB_X0_I0+12+0+0:vgprValuB_X0_I0+12+0+0+1], v[vgprValuA_X0_I0+0+0+0:vgprValuA_X0_I0+0+0+0+1], a[96:99]
/*  mfmaIndex:25  */
/* localReadsVacancy: latencyLeft 2 */
v_mfma_f32_16x16x16_f16 a[100+0:103+0], v[vgprValuB_X0_I0+12+0+0:vgprValuB_X0_I0+12+0+0+1], v[vgprValuA_X0_I0+2+0+0:vgprValuA_X0_I0+2+0+0+1], a[100:103]
/*  mfmaIndex:26  */
/* localReadsVacancy: latencyLeft 2 */
	;; [unrolled: 3-line block ×7, first 2 shown]
v_mfma_f32_16x16x16_f16 a[112+0:115+0], v[vgprValuB_X0_I0+14+0+0:vgprValuB_X0_I0+14+0+0+1], v[vgprValuA_X0_I0+0+0+0:vgprValuA_X0_I0+0+0+0+1], a[112:115]
/* numPrefetchIter=0 */
/* dataAtIterA=-1 numReadsIterA=1 skipReadsIterA=1 readsPerIterA=1 */
/* dataAtIterB=-1 numReadsIterB=1 skipReadsIterB=1 readsPerIterB=8 */


/* iter 1 (last unrolled loop) */

s_waitcnt vmcnt(8)                                 // lgkmcnt=-1 vmcnt=8global read wait for DirectToVgpr

/*  grEndMfmaIndex:0, lwStartMfmaIndex:108, lwEndMfmaIndex:108  */
/*  numMfmaForLR:13, barrierMfmaIndex:114 */
/*  mfmaIndex:32  */
/* localReadsVacancy: latencyLeft 2 */
s_waitcnt lgkmcnt(15)                              // lgkmcnt=0 vmcnt=-1wait for prior local read local write old=8, new=8 newLW=0 newLR=0
/* pack scheduling: packAIdx:2, packBIdx:2 */
v_perm_b32 v[vgprValuA_X1_I0+0], v[vgprValuA_X1_I0_D1+0], v[vgprValuA_X1_I0_D0+0], s[sgprPackKForV0] // select K=01 for vector=0
v_perm_b32 v[vgprValuA_X1_I0+1], v[vgprValuA_X1_I0_D3+0], v[vgprValuA_X1_I0_D2+0], s[sgprPackKForV0] // select K=23 for vector=0
v_perm_b32 v[vgprValuB_X1_I0+0], v[vgprValuB_X1_I0_D1+0], v[vgprValuB_X1_I0_D0+0], s[sgprPackKForV0] // select K=01 for vector=0
v_perm_b32 v[vgprValuB_X1_I0+1], v[vgprValuB_X1_I0_D3+0], v[vgprValuB_X1_I0_D2+0], s[sgprPackKForV0] // select K=23 for vector=0
v_perm_b32 v[vgprValuA_X1_I0+2], v[vgprValuA_X1_I0_D1+0], v[vgprValuA_X1_I0_D0+0], s[sgprPackKForV1] // select K=01 for vector=1
v_perm_b32 v[vgprValuA_X1_I0+3], v[vgprValuA_X1_I0_D3+0], v[vgprValuA_X1_I0_D2+0], s[sgprPackKForV1] // select K=23 for vector=1
v_mfma_f32_16x16x16_f16 a[0+0:3+0], v[vgprValuB_X1_I0+0+0+0:vgprValuB_X1_I0+0+0+0+1], v[vgprValuA_X1_I0+0+0+0:vgprValuA_X1_I0+0+0+0+1], a[0:3]
/*  mfmaIndex:33  */
/* localReadsVacancy: latencyLeft 2 */
/* pack scheduling: packAIdx:4, packBIdx:2 */
v_perm_b32 v[vgprValuA_X1_I0+4], v[vgprValuA_X1_I0_D1+1], v[vgprValuA_X1_I0_D0+1], s[sgprPackKForV0] // select K=01 for vector=0
v_perm_b32 v[vgprValuA_X1_I0+5], v[vgprValuA_X1_I0_D3+1], v[vgprValuA_X1_I0_D2+1], s[sgprPackKForV0] // select K=23 for vector=0
v_mfma_f32_16x16x16_f16 a[4+0:7+0], v[vgprValuB_X1_I0+0+0+0:vgprValuB_X1_I0+0+0+0+1], v[vgprValuA_X1_I0+2+0+0:vgprValuA_X1_I0+2+0+0+1], a[4:7]
/*  mfmaIndex:34  */
/* localReadsVacancy: latencyLeft 2 */
/* pack scheduling: packAIdx:6, packBIdx:2 */
v_perm_b32 v[vgprValuA_X1_I0+6], v[vgprValuA_X1_I0_D1+1], v[vgprValuA_X1_I0_D0+1], s[sgprPackKForV1] // select K=01 for vector=1
v_perm_b32 v[vgprValuA_X1_I0+7], v[vgprValuA_X1_I0_D3+1], v[vgprValuA_X1_I0_D2+1], s[sgprPackKForV1] // select K=23 for vector=1
v_mfma_f32_16x16x16_f16 a[8+0:11+0], v[vgprValuB_X1_I0+0+0+0:vgprValuB_X1_I0+0+0+0+1], v[vgprValuA_X1_I0+4+0+0:vgprValuA_X1_I0+4+0+0+1], a[8:11]
/*  mfmaIndex:35  */
/* localReadsVacancy: latencyLeft 2 */
/* pack scheduling: packAIdx:8, packBIdx:2 */
v_perm_b32 v[vgprValuB_X1_I0+2], v[vgprValuB_X1_I0_D1+0], v[vgprValuB_X1_I0_D0+0], s[sgprPackKForV1] // select K=01 for vector=1
v_perm_b32 v[vgprValuB_X1_I0+3], v[vgprValuB_X1_I0_D3+0], v[vgprValuB_X1_I0_D2+0], s[sgprPackKForV1] // select K=23 for vector=1
v_mfma_f32_16x16x16_f16 a[12+0:15+0], v[vgprValuB_X1_I0+0+0+0:vgprValuB_X1_I0+0+0+0+1], v[vgprValuA_X1_I0+6+0+0:vgprValuA_X1_I0+6+0+0+1], a[12:15]
/*  mfmaIndex:36  */
/* localReadsVacancy: latencyLeft 2 */
/* pack scheduling: packAIdx:8, packBIdx:4 */
v_perm_b32 v[vgprValuB_X1_I0+4], v[vgprValuB_X1_I0_D1+1], v[vgprValuB_X1_I0_D0+1], s[sgprPackKForV0] // select K=01 for vector=0
v_perm_b32 v[vgprValuB_X1_I0+5], v[vgprValuB_X1_I0_D3+1], v[vgprValuB_X1_I0_D2+1], s[sgprPackKForV0] // select K=23 for vector=0
v_mfma_f32_16x16x16_f16 a[28+0:31+0], v[vgprValuB_X1_I0+2+0+0:vgprValuB_X1_I0+2+0+0+1], v[vgprValuA_X1_I0+6+0+0:vgprValuA_X1_I0+6+0+0+1], a[28:31]
/*  mfmaIndex:37  */
/* localReadsVacancy: latencyLeft 2 */
/* pack scheduling: packAIdx:8, packBIdx:4 */
v_perm_b32 v[vgprValuB_X1_I0+6], v[vgprValuB_X1_I0_D1+1], v[vgprValuB_X1_I0_D0+1], s[sgprPackKForV1] // select K=01 for vector=1
v_perm_b32 v[vgprValuB_X1_I0+7], v[vgprValuB_X1_I0_D3+1], v[vgprValuB_X1_I0_D2+1], s[sgprPackKForV1] // select K=23 for vector=1
v_mfma_f32_16x16x16_f16 a[24+0:27+0], v[vgprValuB_X1_I0+2+0+0:vgprValuB_X1_I0+2+0+0+1], v[vgprValuA_X1_I0+4+0+0:vgprValuA_X1_I0+4+0+0+1], a[24:27]
/*  mfmaIndex:38  */
/* localReadsVacancy: latencyLeft 2 */
/* pack scheduling: packAIdx:8, packBIdx:4 */
v_perm_b32 v[vgprValuB_X1_I0+8], v[vgprValuB_X1_I0_D1+2], v[vgprValuB_X1_I0_D0+2], s[sgprPackKForV0] // select K=01 for vector=0
v_perm_b32 v[vgprValuB_X1_I0+9], v[vgprValuB_X1_I0_D3+2], v[vgprValuB_X1_I0_D2+2], s[sgprPackKForV0] // select K=23 for vector=0
	;; [unrolled: 12-line block ×3, first 2 shown]
v_mfma_f32_16x16x16_f16 a[32+0:35+0], v[vgprValuB_X1_I0+4+0+0:vgprValuB_X1_I0+4+0+0+1], v[vgprValuA_X1_I0+0+0+0:vgprValuA_X1_I0+0+0+0+1], a[32:35]
/*  mfmaIndex:41  */
/* localReadsVacancy: latencyLeft 2 */
/* pack scheduling: packAIdx:8, packBIdx:6 */
v_perm_b32 v[vgprValuB_X1_I0+14], v[vgprValuB_X1_I0_D1+3], v[vgprValuB_X1_I0_D0+3], s[sgprPackKForV1] // select K=01 for vector=1
v_perm_b32 v[vgprValuB_X1_I0+15], v[vgprValuB_X1_I0_D3+3], v[vgprValuB_X1_I0_D2+3], s[sgprPackKForV1] // select K=23 for vector=1
v_mfma_f32_16x16x16_f16 a[36+0:39+0], v[vgprValuB_X1_I0+4+0+0:vgprValuB_X1_I0+4+0+0+1], v[vgprValuA_X1_I0+2+0+0:vgprValuA_X1_I0+2+0+0+1], a[36:39]
/*  mfmaIndex:42  */
/* localReadsVacancy: latencyLeft 2 */
v_mfma_f32_16x16x16_f16 a[40+0:43+0], v[vgprValuB_X1_I0+4+0+0:vgprValuB_X1_I0+4+0+0+1], v[vgprValuA_X1_I0+4+0+0:vgprValuA_X1_I0+4+0+0+1], a[40:43]
/*  mfmaIndex:43  */
/* localReadsVacancy: latencyLeft 2 */
	;; [unrolled: 3-line block ×22, first 2 shown]
v_mfma_f32_16x16x16_f16 a[112+0:115+0], v[vgprValuB_X1_I0+14+0+0:vgprValuB_X1_I0+14+0+0+1], v[vgprValuA_X1_I0+0+0+0:vgprValuA_X1_I0+0+0+0+1], a[112:115]
s_setprio 0                                        // store optimization
/* numPrefetchIter=0 */
/* dataAtIterA=0 numReadsIterA=2 skipReadsIterA=1 readsPerIterA=1 */
/* dataAtIterB=0 numReadsIterB=2 skipReadsIterB=1 readsPerIterB=8 */


/* iter 2 (last unrolled loop) */

s_waitcnt vmcnt(4)                                 // lgkmcnt=-1 vmcnt=4global read wait for DirectToVgpr

/*  grEndMfmaIndex:0, lwStartMfmaIndex:108, lwEndMfmaIndex:108  */
/*  numMfmaForLR:13, barrierMfmaIndex:114 */
/*  mfmaIndex:64  */
/* localReadsVacancy: latencyLeft 2 */
s_waitcnt lgkmcnt(0)                               // lgkmcnt=0 vmcnt=-1wait for prior local read local write old=0, new=0 newLW=0 newLR=0
/* pack scheduling: packAIdx:2, packBIdx:2 */
v_perm_b32 v[vgprValuA_X2_I0+0], v[vgprValuA_X2_I0_D1+0], v[vgprValuA_X2_I0_D0+0], s[sgprPackKForV0] // select K=01 for vector=0
v_perm_b32 v[vgprValuA_X2_I0+1], v[vgprValuA_X2_I0_D3+0], v[vgprValuA_X2_I0_D2+0], s[sgprPackKForV0] // select K=23 for vector=0
v_perm_b32 v[vgprValuB_X2_I0+0], v[vgprValuB_X2_I0_D1+0], v[vgprValuB_X2_I0_D0+0], s[sgprPackKForV0] // select K=01 for vector=0
v_perm_b32 v[vgprValuB_X2_I0+1], v[vgprValuB_X2_I0_D3+0], v[vgprValuB_X2_I0_D2+0], s[sgprPackKForV0] // select K=23 for vector=0
v_perm_b32 v[vgprValuA_X2_I0+2], v[vgprValuA_X2_I0_D1+0], v[vgprValuA_X2_I0_D0+0], s[sgprPackKForV1] // select K=01 for vector=1
v_perm_b32 v[vgprValuA_X2_I0+3], v[vgprValuA_X2_I0_D3+0], v[vgprValuA_X2_I0_D2+0], s[sgprPackKForV1] // select K=23 for vector=1
v_mfma_f32_16x16x16_f16 a[0+0:3+0], v[vgprValuB_X2_I0+0+0+0:vgprValuB_X2_I0+0+0+0+1], v[vgprValuA_X2_I0+0+0+0:vgprValuA_X2_I0+0+0+0+1], a[0:3]
/*  mfmaIndex:65  */
/* localReadsVacancy: latencyLeft 2 */
/* pack scheduling: packAIdx:4, packBIdx:2 */
v_perm_b32 v[vgprValuA_X2_I0+4], v[vgprValuA_X2_I0_D1+1], v[vgprValuA_X2_I0_D0+1], s[sgprPackKForV0] // select K=01 for vector=0
v_perm_b32 v[vgprValuA_X2_I0+5], v[vgprValuA_X2_I0_D3+1], v[vgprValuA_X2_I0_D2+1], s[sgprPackKForV0] // select K=23 for vector=0
v_mfma_f32_16x16x16_f16 a[4+0:7+0], v[vgprValuB_X2_I0+0+0+0:vgprValuB_X2_I0+0+0+0+1], v[vgprValuA_X2_I0+2+0+0:vgprValuA_X2_I0+2+0+0+1], a[4:7]
/*  mfmaIndex:66  */
/* localReadsVacancy: latencyLeft 2 */
/* pack scheduling: packAIdx:6, packBIdx:2 */
v_perm_b32 v[vgprValuA_X2_I0+6], v[vgprValuA_X2_I0_D1+1], v[vgprValuA_X2_I0_D0+1], s[sgprPackKForV1] // select K=01 for vector=1
v_perm_b32 v[vgprValuA_X2_I0+7], v[vgprValuA_X2_I0_D3+1], v[vgprValuA_X2_I0_D2+1], s[sgprPackKForV1] // select K=23 for vector=1
v_mfma_f32_16x16x16_f16 a[8+0:11+0], v[vgprValuB_X2_I0+0+0+0:vgprValuB_X2_I0+0+0+0+1], v[vgprValuA_X2_I0+4+0+0:vgprValuA_X2_I0+4+0+0+1], a[8:11]
/*  mfmaIndex:67  */
/* localReadsVacancy: latencyLeft 2 */
/* pack scheduling: packAIdx:8, packBIdx:2 */
v_perm_b32 v[vgprValuB_X2_I0+2], v[vgprValuB_X2_I0_D1+0], v[vgprValuB_X2_I0_D0+0], s[sgprPackKForV1] // select K=01 for vector=1
v_perm_b32 v[vgprValuB_X2_I0+3], v[vgprValuB_X2_I0_D3+0], v[vgprValuB_X2_I0_D2+0], s[sgprPackKForV1] // select K=23 for vector=1
v_mfma_f32_16x16x16_f16 a[12+0:15+0], v[vgprValuB_X2_I0+0+0+0:vgprValuB_X2_I0+0+0+0+1], v[vgprValuA_X2_I0+6+0+0:vgprValuA_X2_I0+6+0+0+1], a[12:15]
/*  mfmaIndex:68  */
/* localReadsVacancy: latencyLeft 2 */
/* pack scheduling: packAIdx:8, packBIdx:4 */
v_perm_b32 v[vgprValuB_X2_I0+4], v[vgprValuB_X2_I0_D1+1], v[vgprValuB_X2_I0_D0+1], s[sgprPackKForV0] // select K=01 for vector=0
v_perm_b32 v[vgprValuB_X2_I0+5], v[vgprValuB_X2_I0_D3+1], v[vgprValuB_X2_I0_D2+1], s[sgprPackKForV0] // select K=23 for vector=0
v_mfma_f32_16x16x16_f16 a[28+0:31+0], v[vgprValuB_X2_I0+2+0+0:vgprValuB_X2_I0+2+0+0+1], v[vgprValuA_X2_I0+6+0+0:vgprValuA_X2_I0+6+0+0+1], a[28:31]
/*  mfmaIndex:69  */
/* localReadsVacancy: latencyLeft 2 */
/* pack scheduling: packAIdx:8, packBIdx:4 */
v_perm_b32 v[vgprValuB_X2_I0+6], v[vgprValuB_X2_I0_D1+1], v[vgprValuB_X2_I0_D0+1], s[sgprPackKForV1] // select K=01 for vector=1
v_perm_b32 v[vgprValuB_X2_I0+7], v[vgprValuB_X2_I0_D3+1], v[vgprValuB_X2_I0_D2+1], s[sgprPackKForV1] // select K=23 for vector=1
v_mfma_f32_16x16x16_f16 a[24+0:27+0], v[vgprValuB_X2_I0+2+0+0:vgprValuB_X2_I0+2+0+0+1], v[vgprValuA_X2_I0+4+0+0:vgprValuA_X2_I0+4+0+0+1], a[24:27]
/*  mfmaIndex:70  */
/* localReadsVacancy: latencyLeft 2 */
/* pack scheduling: packAIdx:8, packBIdx:4 */
v_perm_b32 v[vgprValuB_X2_I0+8], v[vgprValuB_X2_I0_D1+2], v[vgprValuB_X2_I0_D0+2], s[sgprPackKForV0] // select K=01 for vector=0
v_perm_b32 v[vgprValuB_X2_I0+9], v[vgprValuB_X2_I0_D3+2], v[vgprValuB_X2_I0_D2+2], s[sgprPackKForV0] // select K=23 for vector=0
	;; [unrolled: 12-line block ×3, first 2 shown]
v_mfma_f32_16x16x16_f16 a[32+0:35+0], v[vgprValuB_X2_I0+4+0+0:vgprValuB_X2_I0+4+0+0+1], v[vgprValuA_X2_I0+0+0+0:vgprValuA_X2_I0+0+0+0+1], a[32:35]
/*  mfmaIndex:73  */
/* localReadsVacancy: latencyLeft 2 */
/* pack scheduling: packAIdx:8, packBIdx:6 */
v_perm_b32 v[vgprValuB_X2_I0+14], v[vgprValuB_X2_I0_D1+3], v[vgprValuB_X2_I0_D0+3], s[sgprPackKForV1] // select K=01 for vector=1
v_perm_b32 v[vgprValuB_X2_I0+15], v[vgprValuB_X2_I0_D3+3], v[vgprValuB_X2_I0_D2+3], s[sgprPackKForV1] // select K=23 for vector=1
v_mfma_f32_16x16x16_f16 a[36+0:39+0], v[vgprValuB_X2_I0+4+0+0:vgprValuB_X2_I0+4+0+0+1], v[vgprValuA_X2_I0+2+0+0:vgprValuA_X2_I0+2+0+0+1], a[36:39]
/*  mfmaIndex:74  */
/* localReadsVacancy: latencyLeft 2 */
v_mfma_f32_16x16x16_f16 a[40+0:43+0], v[vgprValuB_X2_I0+4+0+0:vgprValuB_X2_I0+4+0+0+1], v[vgprValuA_X2_I0+4+0+0:vgprValuA_X2_I0+4+0+0+1], a[40:43]
/*  mfmaIndex:75  */
/* localReadsVacancy: latencyLeft 2 */
	;; [unrolled: 3-line block ×22, first 2 shown]
v_mfma_f32_16x16x16_f16 a[112+0:115+0], v[vgprValuB_X2_I0+14+0+0:vgprValuB_X2_I0+14+0+0+1], v[vgprValuA_X2_I0+0+0+0:vgprValuA_X2_I0+0+0+0+1], a[112:115]
/* numPrefetchIter=0 */
/* dataAtIterA=1 numReadsIterA=3 skipReadsIterA=1 readsPerIterA=1 */
/* dataAtIterB=1 numReadsIterB=3 skipReadsIterB=1 readsPerIterB=8 */


/* iter 3 (last unrolled loop) */

s_waitcnt vmcnt(0)                                 // lgkmcnt=-1 vmcnt=0global read wait for DirectToVgpr

/*  grEndMfmaIndex:0, lwStartMfmaIndex:108, lwEndMfmaIndex:108  */
/*  numMfmaForLR:13, barrierMfmaIndex:114 */
/*  mfmaIndex:96  */
s_waitcnt lgkmcnt(0)                               // lgkmcnt=0 vmcnt=-1wait for prior local read local write old=0, new=0 newLW=0 newLR=0
/* pack scheduling: packAIdx:2, packBIdx:2 */
v_perm_b32 v[vgprValuA_X3_I0+0], v[vgprValuA_X3_I0_D1+0], v[vgprValuA_X3_I0_D0+0], s[sgprPackKForV0] // select K=01 for vector=0
v_perm_b32 v[vgprValuA_X3_I0+1], v[vgprValuA_X3_I0_D3+0], v[vgprValuA_X3_I0_D2+0], s[sgprPackKForV0] // select K=23 for vector=0
v_perm_b32 v[vgprValuB_X3_I0+0], v[vgprValuB_X3_I0_D1+0], v[vgprValuB_X3_I0_D0+0], s[sgprPackKForV0] // select K=01 for vector=0
v_perm_b32 v[vgprValuB_X3_I0+1], v[vgprValuB_X3_I0_D3+0], v[vgprValuB_X3_I0_D2+0], s[sgprPackKForV0] // select K=23 for vector=0
v_perm_b32 v[vgprValuA_X3_I0+2], v[vgprValuA_X3_I0_D1+0], v[vgprValuA_X3_I0_D0+0], s[sgprPackKForV1] // select K=01 for vector=1
v_perm_b32 v[vgprValuA_X3_I0+3], v[vgprValuA_X3_I0_D3+0], v[vgprValuA_X3_I0_D2+0], s[sgprPackKForV1] // select K=23 for vector=1
v_mfma_f32_16x16x16_f16 a[0+0:3+0], v[vgprValuB_X3_I0+0+0+0:vgprValuB_X3_I0+0+0+0+1], v[vgprValuA_X3_I0+0+0+0:vgprValuA_X3_I0+0+0+0+1], a[0:3]
/*  mfmaIndex:97  */
/* pack scheduling: packAIdx:4, packBIdx:2 */
v_perm_b32 v[vgprValuA_X3_I0+4], v[vgprValuA_X3_I0_D1+1], v[vgprValuA_X3_I0_D0+1], s[sgprPackKForV0] // select K=01 for vector=0
v_perm_b32 v[vgprValuA_X3_I0+5], v[vgprValuA_X3_I0_D3+1], v[vgprValuA_X3_I0_D2+1], s[sgprPackKForV0] // select K=23 for vector=0
v_mfma_f32_16x16x16_f16 a[4+0:7+0], v[vgprValuB_X3_I0+0+0+0:vgprValuB_X3_I0+0+0+0+1], v[vgprValuA_X3_I0+2+0+0:vgprValuA_X3_I0+2+0+0+1], a[4:7]
/*  mfmaIndex:98  */
/* pack scheduling: packAIdx:6, packBIdx:2 */
v_perm_b32 v[vgprValuA_X3_I0+6], v[vgprValuA_X3_I0_D1+1], v[vgprValuA_X3_I0_D0+1], s[sgprPackKForV1] // select K=01 for vector=1
v_perm_b32 v[vgprValuA_X3_I0+7], v[vgprValuA_X3_I0_D3+1], v[vgprValuA_X3_I0_D2+1], s[sgprPackKForV1] // select K=23 for vector=1
v_mfma_f32_16x16x16_f16 a[8+0:11+0], v[vgprValuB_X3_I0+0+0+0:vgprValuB_X3_I0+0+0+0+1], v[vgprValuA_X3_I0+4+0+0:vgprValuA_X3_I0+4+0+0+1], a[8:11]
/*  mfmaIndex:99  */
/* pack scheduling: packAIdx:8, packBIdx:2 */
v_perm_b32 v[vgprValuB_X3_I0+2], v[vgprValuB_X3_I0_D1+0], v[vgprValuB_X3_I0_D0+0], s[sgprPackKForV1] // select K=01 for vector=1
v_perm_b32 v[vgprValuB_X3_I0+3], v[vgprValuB_X3_I0_D3+0], v[vgprValuB_X3_I0_D2+0], s[sgprPackKForV1] // select K=23 for vector=1
v_mfma_f32_16x16x16_f16 a[12+0:15+0], v[vgprValuB_X3_I0+0+0+0:vgprValuB_X3_I0+0+0+0+1], v[vgprValuA_X3_I0+6+0+0:vgprValuA_X3_I0+6+0+0+1], a[12:15]
/*  mfmaIndex:100  */
/* pack scheduling: packAIdx:8, packBIdx:4 */
v_perm_b32 v[vgprValuB_X3_I0+4], v[vgprValuB_X3_I0_D1+1], v[vgprValuB_X3_I0_D0+1], s[sgprPackKForV0] // select K=01 for vector=0
v_perm_b32 v[vgprValuB_X3_I0+5], v[vgprValuB_X3_I0_D3+1], v[vgprValuB_X3_I0_D2+1], s[sgprPackKForV0] // select K=23 for vector=0
v_mfma_f32_16x16x16_f16 a[28+0:31+0], v[vgprValuB_X3_I0+2+0+0:vgprValuB_X3_I0+2+0+0+1], v[vgprValuA_X3_I0+6+0+0:vgprValuA_X3_I0+6+0+0+1], a[28:31]
/*  mfmaIndex:101  */
/* pack scheduling: packAIdx:8, packBIdx:4 */
v_perm_b32 v[vgprValuB_X3_I0+6], v[vgprValuB_X3_I0_D1+1], v[vgprValuB_X3_I0_D0+1], s[sgprPackKForV1] // select K=01 for vector=1
v_perm_b32 v[vgprValuB_X3_I0+7], v[vgprValuB_X3_I0_D3+1], v[vgprValuB_X3_I0_D2+1], s[sgprPackKForV1] // select K=23 for vector=1
v_mfma_f32_16x16x16_f16 a[24+0:27+0], v[vgprValuB_X3_I0+2+0+0:vgprValuB_X3_I0+2+0+0+1], v[vgprValuA_X3_I0+4+0+0:vgprValuA_X3_I0+4+0+0+1], a[24:27]
/*  mfmaIndex:102  */
/* pack scheduling: packAIdx:8, packBIdx:4 */
v_perm_b32 v[vgprValuB_X3_I0+8], v[vgprValuB_X3_I0_D1+2], v[vgprValuB_X3_I0_D0+2], s[sgprPackKForV0] // select K=01 for vector=0
v_perm_b32 v[vgprValuB_X3_I0+9], v[vgprValuB_X3_I0_D3+2], v[vgprValuB_X3_I0_D2+2], s[sgprPackKForV0] // select K=23 for vector=0
	;; [unrolled: 10-line block ×3, first 2 shown]
v_mfma_f32_16x16x16_f16 a[32+0:35+0], v[vgprValuB_X3_I0+4+0+0:vgprValuB_X3_I0+4+0+0+1], v[vgprValuA_X3_I0+0+0+0:vgprValuA_X3_I0+0+0+0+1], a[32:35]
/*  mfmaIndex:105  */
/* pack scheduling: packAIdx:8, packBIdx:6 */
v_perm_b32 v[vgprValuB_X3_I0+14], v[vgprValuB_X3_I0_D1+3], v[vgprValuB_X3_I0_D0+3], s[sgprPackKForV1] // select K=01 for vector=1
v_perm_b32 v[vgprValuB_X3_I0+15], v[vgprValuB_X3_I0_D3+3], v[vgprValuB_X3_I0_D2+3], s[sgprPackKForV1] // select K=23 for vector=1
v_mfma_f32_16x16x16_f16 a[36+0:39+0], v[vgprValuB_X3_I0+4+0+0:vgprValuB_X3_I0+4+0+0+1], v[vgprValuA_X3_I0+2+0+0:vgprValuA_X3_I0+2+0+0+1], a[36:39]
/*  mfmaIndex:106  */
v_mfma_f32_16x16x16_f16 a[40+0:43+0], v[vgprValuB_X3_I0+4+0+0:vgprValuB_X3_I0+4+0+0+1], v[vgprValuA_X3_I0+4+0+0:vgprValuA_X3_I0+4+0+0+1], a[40:43]
/*  mfmaIndex:107  */
/* 1 LDS buffer: read-sync-write */
s_waitcnt lgkmcnt(0)                               // 
s_barrier                                          // 
v_mfma_f32_16x16x16_f16 a[44+0:47+0], v[vgprValuB_X3_I0+4+0+0:vgprValuB_X3_I0+4+0+0+1], v[vgprValuA_X3_I0+6+0+0:vgprValuA_X3_I0+6+0+0+1], a[44:47]
/*  mfmaIndex:108  */
v_mfma_f32_16x16x16_f16 a[60+0:63+0], v[vgprValuB_X3_I0+6+0+0:vgprValuB_X3_I0+6+0+0+1], v[vgprValuA_X3_I0+6+0+0:vgprValuA_X3_I0+6+0+0+1], a[60:63]
/*  mfmaIndex:109  */
	;; [unrolled: 2-line block ×20, first 2 shown]
v_mfma_f32_16x16x16_f16 a[112+0:115+0], v[vgprValuB_X3_I0+14+0+0:vgprValuB_X3_I0+14+0+0+1], v[vgprValuA_X3_I0+0+0+0:vgprValuA_X3_I0+0+0+0+1], a[112:115]
/* numPrefetchIter=0 */
/* dataAtIterA=2 numReadsIterA=3 skipReadsIterA=0 readsPerIterA=1 */
/* dataAtIterB=2 numReadsIterB=3 skipReadsIterB=0 readsPerIterB=8 */

s_branch label_0029                                // Skip even code
label_0028: // EvenStartNoLoadLoopOrd 


	;; [unrolled: 1-line block ×3, first 2 shown]
/* iter 0 (last unrolled loop) */

s_waitcnt vmcnt(12)                                // lgkmcnt=-1 vmcnt=12global read wait for DirectToVgpr

/*  grEndMfmaIndex:0, lwStartMfmaIndex:108, lwEndMfmaIndex:108  */
/*  numMfmaForLR:13, barrierMfmaIndex:114 */
/*  mfmaIndex:0  */
s_waitcnt lgkmcnt(0)                               // lgkmcnt=0 vmcnt=-1wait for prior local read local write old=0, new=0 newLW=0 newLR=0
/* pack scheduling: packAIdx:2, packBIdx:2 */
v_perm_b32 v[vgprValuA_X4_I0+0], v[vgprValuA_X4_I0_D1+0], v[vgprValuA_X4_I0_D0+0], s[sgprPackKForV0] // select K=01 for vector=0
v_perm_b32 v[vgprValuA_X4_I0+1], v[vgprValuA_X4_I0_D3+0], v[vgprValuA_X4_I0_D2+0], s[sgprPackKForV0] // select K=23 for vector=0
v_perm_b32 v[vgprValuB_X0_I0+0], v[vgprValuB_X0_I0_D1+0], v[vgprValuB_X0_I0_D0+0], s[sgprPackKForV0] // select K=01 for vector=0
v_perm_b32 v[vgprValuB_X0_I0+1], v[vgprValuB_X0_I0_D3+0], v[vgprValuB_X0_I0_D2+0], s[sgprPackKForV0] // select K=23 for vector=0
v_perm_b32 v[vgprValuA_X4_I0+2], v[vgprValuA_X4_I0_D1+0], v[vgprValuA_X4_I0_D0+0], s[sgprPackKForV1] // select K=01 for vector=1
v_perm_b32 v[vgprValuA_X4_I0+3], v[vgprValuA_X4_I0_D3+0], v[vgprValuA_X4_I0_D2+0], s[sgprPackKForV1] // select K=23 for vector=1
v_mfma_f32_16x16x16_f16 a[0+0:3+0], v[vgprValuB_X0_I0+0+0+0:vgprValuB_X0_I0+0+0+0+1], v[vgprValuA_X4_I0+0+0+0:vgprValuA_X4_I0+0+0+0+1], a[0:3]
/*  mfmaIndex:1  */
_ds_load_b64 v[vgprValuB_X1_I0_D0+0:vgprValuB_X1_I0_D0+0+1], v[vgprLocalReadAddrB] offset:4096 // L -> Reg lro=2048 swapByteOffset=0 ti=64 vIdx=0 rIdx=0 oIdx=0 buffer=1 iui=0
s_setprio 3                                        // store optimization
/* pack scheduling: packAIdx:4, packBIdx:2 */
v_perm_b32 v[vgprValuA_X4_I0+4], v[vgprValuA_X4_I0_D1+1], v[vgprValuA_X4_I0_D0+1], s[sgprPackKForV0] // select K=01 for vector=0
v_perm_b32 v[vgprValuA_X4_I0+5], v[vgprValuA_X4_I0_D3+1], v[vgprValuA_X4_I0_D2+1], s[sgprPackKForV0] // select K=23 for vector=0
v_mfma_f32_16x16x16_f16 a[4+0:7+0], v[vgprValuB_X0_I0+0+0+0:vgprValuB_X0_I0+0+0+0+1], v[vgprValuA_X4_I0+2+0+0:vgprValuA_X4_I0+2+0+0+1], a[4:7]
/*  mfmaIndex:2  */
_ds_load_b64 v[vgprValuB_X1_I0_D1+0:vgprValuB_X1_I0_D1+0+1], v[vgprLocalReadAddrB] offset:4352 // L -> Reg lro=2048 swapByteOffset=0 ti=64 vIdx=0 rIdx=1 oIdx=0 buffer=1 iui=0
/* pack scheduling: packAIdx:6, packBIdx:2 */
v_perm_b32 v[vgprValuA_X4_I0+6], v[vgprValuA_X4_I0_D1+1], v[vgprValuA_X4_I0_D0+1], s[sgprPackKForV1] // select K=01 for vector=1
v_perm_b32 v[vgprValuA_X4_I0+7], v[vgprValuA_X4_I0_D3+1], v[vgprValuA_X4_I0_D2+1], s[sgprPackKForV1] // select K=23 for vector=1
v_mfma_f32_16x16x16_f16 a[8+0:11+0], v[vgprValuB_X0_I0+0+0+0:vgprValuB_X0_I0+0+0+0+1], v[vgprValuA_X4_I0+4+0+0:vgprValuA_X4_I0+4+0+0+1], a[8:11]
/*  mfmaIndex:3  */
_ds_load_b64 v[vgprValuB_X1_I0_D2+0:vgprValuB_X1_I0_D2+0+1], v[vgprLocalReadAddrB] offset:4608 // L -> Reg lro=2048 swapByteOffset=0 ti=64 vIdx=0 rIdx=2 oIdx=0 buffer=1 iui=0
/* pack scheduling: packAIdx:8, packBIdx:2 */
v_perm_b32 v[vgprValuB_X0_I0+2], v[vgprValuB_X0_I0_D1+0], v[vgprValuB_X0_I0_D0+0], s[sgprPackKForV1] // select K=01 for vector=1
v_perm_b32 v[vgprValuB_X0_I0+3], v[vgprValuB_X0_I0_D3+0], v[vgprValuB_X0_I0_D2+0], s[sgprPackKForV1] // select K=23 for vector=1
v_mfma_f32_16x16x16_f16 a[12+0:15+0], v[vgprValuB_X0_I0+0+0+0:vgprValuB_X0_I0+0+0+0+1], v[vgprValuA_X4_I0+6+0+0:vgprValuA_X4_I0+6+0+0+1], a[12:15]
/*  mfmaIndex:4  */
_ds_load_b64 v[vgprValuB_X1_I0_D3+0:vgprValuB_X1_I0_D3+0+1], v[vgprLocalReadAddrB] offset:4864 // L -> Reg lro=2048 swapByteOffset=0 ti=64 vIdx=0 rIdx=3 oIdx=0 buffer=1 iui=0
/* pack scheduling: packAIdx:8, packBIdx:4 */
v_perm_b32 v[vgprValuB_X0_I0+4], v[vgprValuB_X0_I0_D1+1], v[vgprValuB_X0_I0_D0+1], s[sgprPackKForV0] // select K=01 for vector=0
v_perm_b32 v[vgprValuB_X0_I0+5], v[vgprValuB_X0_I0_D3+1], v[vgprValuB_X0_I0_D2+1], s[sgprPackKForV0] // select K=23 for vector=0
v_mfma_f32_16x16x16_f16 a[28+0:31+0], v[vgprValuB_X0_I0+2+0+0:vgprValuB_X0_I0+2+0+0+1], v[vgprValuA_X4_I0+6+0+0:vgprValuA_X4_I0+6+0+0+1], a[28:31]
/*  mfmaIndex:5  */
_ds_load_b64 v[vgprValuB_X1_I0_D0+2:vgprValuB_X1_I0_D0+2+1], v[vgprLocalReadAddrB] offset:4224 // L -> Reg lro=2048 swapByteOffset=0 ti=64 vIdx=1 rIdx=0 oIdx=0 buffer=1 iui=0
/* pack scheduling: packAIdx:8, packBIdx:4 */
v_perm_b32 v[vgprValuB_X0_I0+6], v[vgprValuB_X0_I0_D1+1], v[vgprValuB_X0_I0_D0+1], s[sgprPackKForV1] // select K=01 for vector=1
v_perm_b32 v[vgprValuB_X0_I0+7], v[vgprValuB_X0_I0_D3+1], v[vgprValuB_X0_I0_D2+1], s[sgprPackKForV1] // select K=23 for vector=1
v_mfma_f32_16x16x16_f16 a[24+0:27+0], v[vgprValuB_X0_I0+2+0+0:vgprValuB_X0_I0+2+0+0+1], v[vgprValuA_X4_I0+4+0+0:vgprValuA_X4_I0+4+0+0+1], a[24:27]
/*  mfmaIndex:6  */
_ds_load_b64 v[vgprValuB_X1_I0_D1+2:vgprValuB_X1_I0_D1+2+1], v[vgprLocalReadAddrB] offset:4480 // L -> Reg lro=2048 swapByteOffset=0 ti=64 vIdx=1 rIdx=1 oIdx=0 buffer=1 iui=0
/* pack scheduling: packAIdx:8, packBIdx:4 */
v_perm_b32 v[vgprValuB_X0_I0+8], v[vgprValuB_X0_I0_D1+2], v[vgprValuB_X0_I0_D0+2], s[sgprPackKForV0] // select K=01 for vector=0
v_perm_b32 v[vgprValuB_X0_I0+9], v[vgprValuB_X0_I0_D3+2], v[vgprValuB_X0_I0_D2+2], s[sgprPackKForV0] // select K=23 for vector=0
v_mfma_f32_16x16x16_f16 a[20+0:23+0], v[vgprValuB_X0_I0+2+0+0:vgprValuB_X0_I0+2+0+0+1], v[vgprValuA_X4_I0+2+0+0:vgprValuA_X4_I0+2+0+0+1], a[20:23]
/*  mfmaIndex:7  */
_ds_load_b64 v[vgprValuB_X1_I0_D2+2:vgprValuB_X1_I0_D2+2+1], v[vgprLocalReadAddrB] offset:4736 // L -> Reg lro=2048 swapByteOffset=0 ti=64 vIdx=1 rIdx=2 oIdx=0 buffer=1 iui=0
/* pack scheduling: packAIdx:8, packBIdx:4 */
v_perm_b32 v[vgprValuB_X0_I0+10], v[vgprValuB_X0_I0_D1+2], v[vgprValuB_X0_I0_D0+2], s[sgprPackKForV1] // select K=01 for vector=1
v_perm_b32 v[vgprValuB_X0_I0+11], v[vgprValuB_X0_I0_D3+2], v[vgprValuB_X0_I0_D2+2], s[sgprPackKForV1] // select K=23 for vector=1
v_mfma_f32_16x16x16_f16 a[16+0:19+0], v[vgprValuB_X0_I0+2+0+0:vgprValuB_X0_I0+2+0+0+1], v[vgprValuA_X4_I0+0+0+0:vgprValuA_X4_I0+0+0+0+1], a[16:19]
/*  mfmaIndex:8  */
_ds_load_b64 v[vgprValuB_X1_I0_D3+2:vgprValuB_X1_I0_D3+2+1], v[vgprLocalReadAddrB] offset:4992 // L -> Reg lro=2048 swapByteOffset=0 ti=64 vIdx=1 rIdx=3 oIdx=0 buffer=1 iui=0
/* pack scheduling: packAIdx:8, packBIdx:6 */
v_perm_b32 v[vgprValuB_X0_I0+12], v[vgprValuB_X0_I0_D1+3], v[vgprValuB_X0_I0_D0+3], s[sgprPackKForV0] // select K=01 for vector=0
v_perm_b32 v[vgprValuB_X0_I0+13], v[vgprValuB_X0_I0_D3+3], v[vgprValuB_X0_I0_D2+3], s[sgprPackKForV0] // select K=23 for vector=0
v_mfma_f32_16x16x16_f16 a[32+0:35+0], v[vgprValuB_X0_I0+4+0+0:vgprValuB_X0_I0+4+0+0+1], v[vgprValuA_X4_I0+0+0+0:vgprValuA_X4_I0+0+0+0+1], a[32:35]
/*  mfmaIndex:9  */
/* localReadsVacancy: latencyLeft 2 */
_ds_load_b64 v[vgprValuB_X2_I0_D0+0:vgprValuB_X2_I0_D0+0+1], v[vgprLocalReadAddrB] offset:8192 // L -> Reg lro=4096 swapByteOffset=0 ti=64 vIdx=0 rIdx=0 oIdx=0 buffer=2 iui=0
/* pack scheduling: packAIdx:8, packBIdx:6 */
v_perm_b32 v[vgprValuB_X0_I0+14], v[vgprValuB_X0_I0_D1+3], v[vgprValuB_X0_I0_D0+3], s[sgprPackKForV1] // select K=01 for vector=1
v_perm_b32 v[vgprValuB_X0_I0+15], v[vgprValuB_X0_I0_D3+3], v[vgprValuB_X0_I0_D2+3], s[sgprPackKForV1] // select K=23 for vector=1
v_mfma_f32_16x16x16_f16 a[36+0:39+0], v[vgprValuB_X0_I0+4+0+0:vgprValuB_X0_I0+4+0+0+1], v[vgprValuA_X4_I0+2+0+0:vgprValuA_X4_I0+2+0+0+1], a[36:39]
/*  mfmaIndex:10  */
/* localReadsVacancy: latencyLeft 2 */
_ds_load_b64 v[vgprValuB_X2_I0_D1+0:vgprValuB_X2_I0_D1+0+1], v[vgprLocalReadAddrB] offset:8448 // L -> Reg lro=4096 swapByteOffset=0 ti=64 vIdx=0 rIdx=1 oIdx=0 buffer=2 iui=0
v_mfma_f32_16x16x16_f16 a[40+0:43+0], v[vgprValuB_X0_I0+4+0+0:vgprValuB_X0_I0+4+0+0+1], v[vgprValuA_X4_I0+4+0+0:vgprValuA_X4_I0+4+0+0+1], a[40:43]
/*  mfmaIndex:11  */
/* localReadsVacancy: latencyLeft 2 */
_ds_load_b64 v[vgprValuB_X2_I0_D2+0:vgprValuB_X2_I0_D2+0+1], v[vgprLocalReadAddrB] offset:8704 // L -> Reg lro=4096 swapByteOffset=0 ti=64 vIdx=0 rIdx=2 oIdx=0 buffer=2 iui=0
v_mfma_f32_16x16x16_f16 a[44+0:47+0], v[vgprValuB_X0_I0+4+0+0:vgprValuB_X0_I0+4+0+0+1], v[vgprValuA_X4_I0+6+0+0:vgprValuA_X4_I0+6+0+0+1], a[44:47]
/*  mfmaIndex:12  */
/* localReadsVacancy: latencyLeft 2 */
_ds_load_b64 v[vgprValuB_X2_I0_D3+0:vgprValuB_X2_I0_D3+0+1], v[vgprLocalReadAddrB] offset:8960 // L -> Reg lro=4096 swapByteOffset=0 ti=64 vIdx=0 rIdx=3 oIdx=0 buffer=2 iui=0
v_mfma_f32_16x16x16_f16 a[60+0:63+0], v[vgprValuB_X0_I0+6+0+0:vgprValuB_X0_I0+6+0+0+1], v[vgprValuA_X4_I0+6+0+0:vgprValuA_X4_I0+6+0+0+1], a[60:63]
/*  mfmaIndex:13  */
/* localReadsVacancy: latencyLeft 2 */
_ds_load_b64 v[vgprValuB_X2_I0_D0+2:vgprValuB_X2_I0_D0+2+1], v[vgprLocalReadAddrB] offset:8320 // L -> Reg lro=4096 swapByteOffset=0 ti=64 vIdx=1 rIdx=0 oIdx=0 buffer=2 iui=0
v_mfma_f32_16x16x16_f16 a[56+0:59+0], v[vgprValuB_X0_I0+6+0+0:vgprValuB_X0_I0+6+0+0+1], v[vgprValuA_X4_I0+4+0+0:vgprValuA_X4_I0+4+0+0+1], a[56:59]
/*  mfmaIndex:14  */
/* localReadsVacancy: latencyLeft 2 */
_ds_load_b64 v[vgprValuB_X2_I0_D1+2:vgprValuB_X2_I0_D1+2+1], v[vgprLocalReadAddrB] offset:8576 // L -> Reg lro=4096 swapByteOffset=0 ti=64 vIdx=1 rIdx=1 oIdx=0 buffer=2 iui=0
v_mfma_f32_16x16x16_f16 a[52+0:55+0], v[vgprValuB_X0_I0+6+0+0:vgprValuB_X0_I0+6+0+0+1], v[vgprValuA_X4_I0+2+0+0:vgprValuA_X4_I0+2+0+0+1], a[52:55]
/*  mfmaIndex:15  */
/* localReadsVacancy: latencyLeft 2 */
_ds_load_b64 v[vgprValuB_X2_I0_D2+2:vgprValuB_X2_I0_D2+2+1], v[vgprLocalReadAddrB] offset:8832 // L -> Reg lro=4096 swapByteOffset=0 ti=64 vIdx=1 rIdx=2 oIdx=0 buffer=2 iui=0
v_mfma_f32_16x16x16_f16 a[48+0:51+0], v[vgprValuB_X0_I0+6+0+0:vgprValuB_X0_I0+6+0+0+1], v[vgprValuA_X4_I0+0+0+0:vgprValuA_X4_I0+0+0+0+1], a[48:51]
/*  mfmaIndex:16  */
/* localReadsVacancy: latencyLeft 2 */
_ds_load_b64 v[vgprValuB_X2_I0_D3+2:vgprValuB_X2_I0_D3+2+1], v[vgprLocalReadAddrB] offset:9088 // L -> Reg lro=4096 swapByteOffset=0 ti=64 vIdx=1 rIdx=3 oIdx=0 buffer=2 iui=0
v_mfma_f32_16x16x16_f16 a[64+0:67+0], v[vgprValuB_X0_I0+8+0+0:vgprValuB_X0_I0+8+0+0+1], v[vgprValuA_X4_I0+0+0+0:vgprValuA_X4_I0+0+0+0+1], a[64:67]
/*  mfmaIndex:17  */
/* localReadsVacancy: latencyLeft 2 */
_ds_load_b64 v[vgprValuB_X3_I0_D0+0:vgprValuB_X3_I0_D0+0+1], v[vgprLocalReadAddrB] offset:12288 // L -> Reg lro=6144 swapByteOffset=0 ti=64 vIdx=0 rIdx=0 oIdx=0 buffer=3 iui=0
v_mfma_f32_16x16x16_f16 a[68+0:71+0], v[vgprValuB_X0_I0+8+0+0:vgprValuB_X0_I0+8+0+0+1], v[vgprValuA_X4_I0+2+0+0:vgprValuA_X4_I0+2+0+0+1], a[68:71]
/*  mfmaIndex:18  */
/* localReadsVacancy: latencyLeft 2 */
_ds_load_b64 v[vgprValuB_X3_I0_D1+0:vgprValuB_X3_I0_D1+0+1], v[vgprLocalReadAddrB] offset:12544 // L -> Reg lro=6144 swapByteOffset=0 ti=64 vIdx=0 rIdx=1 oIdx=0 buffer=3 iui=0
v_mfma_f32_16x16x16_f16 a[72+0:75+0], v[vgprValuB_X0_I0+8+0+0:vgprValuB_X0_I0+8+0+0+1], v[vgprValuA_X4_I0+4+0+0:vgprValuA_X4_I0+4+0+0+1], a[72:75]
/*  mfmaIndex:19  */
/* localReadsVacancy: latencyLeft 2 */
_ds_load_b64 v[vgprValuB_X3_I0_D2+0:vgprValuB_X3_I0_D2+0+1], v[vgprLocalReadAddrB] offset:12800 // L -> Reg lro=6144 swapByteOffset=0 ti=64 vIdx=0 rIdx=2 oIdx=0 buffer=3 iui=0
v_mfma_f32_16x16x16_f16 a[76+0:79+0], v[vgprValuB_X0_I0+8+0+0:vgprValuB_X0_I0+8+0+0+1], v[vgprValuA_X4_I0+6+0+0:vgprValuA_X4_I0+6+0+0+1], a[76:79]
/*  mfmaIndex:20  */
/* localReadsVacancy: latencyLeft 2 */
_ds_load_b64 v[vgprValuB_X3_I0_D3+0:vgprValuB_X3_I0_D3+0+1], v[vgprLocalReadAddrB] offset:13056 // L -> Reg lro=6144 swapByteOffset=0 ti=64 vIdx=0 rIdx=3 oIdx=0 buffer=3 iui=0
v_mfma_f32_16x16x16_f16 a[92+0:95+0], v[vgprValuB_X0_I0+10+0+0:vgprValuB_X0_I0+10+0+0+1], v[vgprValuA_X4_I0+6+0+0:vgprValuA_X4_I0+6+0+0+1], a[92:95]
/*  mfmaIndex:21  */
/* localReadsVacancy: latencyLeft 2 */
_ds_load_b64 v[vgprValuB_X3_I0_D0+2:vgprValuB_X3_I0_D0+2+1], v[vgprLocalReadAddrB] offset:12416 // L -> Reg lro=6144 swapByteOffset=0 ti=64 vIdx=1 rIdx=0 oIdx=0 buffer=3 iui=0
v_mfma_f32_16x16x16_f16 a[88+0:91+0], v[vgprValuB_X0_I0+10+0+0:vgprValuB_X0_I0+10+0+0+1], v[vgprValuA_X4_I0+4+0+0:vgprValuA_X4_I0+4+0+0+1], a[88:91]
/*  mfmaIndex:22  */
/* localReadsVacancy: latencyLeft 2 */
_ds_load_b64 v[vgprValuB_X3_I0_D1+2:vgprValuB_X3_I0_D1+2+1], v[vgprLocalReadAddrB] offset:12672 // L -> Reg lro=6144 swapByteOffset=0 ti=64 vIdx=1 rIdx=1 oIdx=0 buffer=3 iui=0
v_mfma_f32_16x16x16_f16 a[84+0:87+0], v[vgprValuB_X0_I0+10+0+0:vgprValuB_X0_I0+10+0+0+1], v[vgprValuA_X4_I0+2+0+0:vgprValuA_X4_I0+2+0+0+1], a[84:87]
/*  mfmaIndex:23  */
/* localReadsVacancy: latencyLeft 2 */
_ds_load_b64 v[vgprValuB_X3_I0_D2+2:vgprValuB_X3_I0_D2+2+1], v[vgprLocalReadAddrB] offset:12928 // L -> Reg lro=6144 swapByteOffset=0 ti=64 vIdx=1 rIdx=2 oIdx=0 buffer=3 iui=0
v_mfma_f32_16x16x16_f16 a[80+0:83+0], v[vgprValuB_X0_I0+10+0+0:vgprValuB_X0_I0+10+0+0+1], v[vgprValuA_X4_I0+0+0+0:vgprValuA_X4_I0+0+0+0+1], a[80:83]
/*  mfmaIndex:24  */
/* localReadsVacancy: latencyLeft 2 */
_ds_load_b64 v[vgprValuB_X3_I0_D3+2:vgprValuB_X3_I0_D3+2+1], v[vgprLocalReadAddrB] offset:13184 // L -> Reg lro=6144 swapByteOffset=0 ti=64 vIdx=1 rIdx=3 oIdx=0 buffer=3 iui=0
v_mfma_f32_16x16x16_f16 a[96+0:99+0], v[vgprValuB_X0_I0+12+0+0:vgprValuB_X0_I0+12+0+0+1], v[vgprValuA_X4_I0+0+0+0:vgprValuA_X4_I0+0+0+0+1], a[96:99]
/*  mfmaIndex:25  */
/* localReadsVacancy: latencyLeft 2 */
v_mfma_f32_16x16x16_f16 a[100+0:103+0], v[vgprValuB_X0_I0+12+0+0:vgprValuB_X0_I0+12+0+0+1], v[vgprValuA_X4_I0+2+0+0:vgprValuA_X4_I0+2+0+0+1], a[100:103]
/*  mfmaIndex:26  */
/* localReadsVacancy: latencyLeft 2 */
	;; [unrolled: 3-line block ×7, first 2 shown]
v_mfma_f32_16x16x16_f16 a[112+0:115+0], v[vgprValuB_X0_I0+14+0+0:vgprValuB_X0_I0+14+0+0+1], v[vgprValuA_X4_I0+0+0+0:vgprValuA_X4_I0+0+0+0+1], a[112:115]
/* numPrefetchIter=0 */
/* dataAtIterA=-1 numReadsIterA=1 skipReadsIterA=1 readsPerIterA=1 */
/* dataAtIterB=-1 numReadsIterB=1 skipReadsIterB=1 readsPerIterB=8 */


/* iter 1 (last unrolled loop) */

s_waitcnt vmcnt(8)                                 // lgkmcnt=-1 vmcnt=8global read wait for DirectToVgpr

/*  grEndMfmaIndex:0, lwStartMfmaIndex:108, lwEndMfmaIndex:108  */
/*  numMfmaForLR:13, barrierMfmaIndex:114 */
/*  mfmaIndex:32  */
/* localReadsVacancy: latencyLeft 2 */
s_waitcnt lgkmcnt(15)                              // lgkmcnt=0 vmcnt=-1wait for prior local read local write old=8, new=8 newLW=0 newLR=0
/* pack scheduling: packAIdx:2, packBIdx:2 */
v_perm_b32 v[vgprValuA_X5_I0+0], v[vgprValuA_X5_I0_D1+0], v[vgprValuA_X5_I0_D0+0], s[sgprPackKForV0] // select K=01 for vector=0
v_perm_b32 v[vgprValuA_X5_I0+1], v[vgprValuA_X5_I0_D3+0], v[vgprValuA_X5_I0_D2+0], s[sgprPackKForV0] // select K=23 for vector=0
v_perm_b32 v[vgprValuB_X1_I0+0], v[vgprValuB_X1_I0_D1+0], v[vgprValuB_X1_I0_D0+0], s[sgprPackKForV0] // select K=01 for vector=0
v_perm_b32 v[vgprValuB_X1_I0+1], v[vgprValuB_X1_I0_D3+0], v[vgprValuB_X1_I0_D2+0], s[sgprPackKForV0] // select K=23 for vector=0
v_perm_b32 v[vgprValuA_X5_I0+2], v[vgprValuA_X5_I0_D1+0], v[vgprValuA_X5_I0_D0+0], s[sgprPackKForV1] // select K=01 for vector=1
v_perm_b32 v[vgprValuA_X5_I0+3], v[vgprValuA_X5_I0_D3+0], v[vgprValuA_X5_I0_D2+0], s[sgprPackKForV1] // select K=23 for vector=1
v_mfma_f32_16x16x16_f16 a[0+0:3+0], v[vgprValuB_X1_I0+0+0+0:vgprValuB_X1_I0+0+0+0+1], v[vgprValuA_X5_I0+0+0+0:vgprValuA_X5_I0+0+0+0+1], a[0:3]
/*  mfmaIndex:33  */
/* localReadsVacancy: latencyLeft 2 */
/* pack scheduling: packAIdx:4, packBIdx:2 */
v_perm_b32 v[vgprValuA_X5_I0+4], v[vgprValuA_X5_I0_D1+1], v[vgprValuA_X5_I0_D0+1], s[sgprPackKForV0] // select K=01 for vector=0
v_perm_b32 v[vgprValuA_X5_I0+5], v[vgprValuA_X5_I0_D3+1], v[vgprValuA_X5_I0_D2+1], s[sgprPackKForV0] // select K=23 for vector=0
v_mfma_f32_16x16x16_f16 a[4+0:7+0], v[vgprValuB_X1_I0+0+0+0:vgprValuB_X1_I0+0+0+0+1], v[vgprValuA_X5_I0+2+0+0:vgprValuA_X5_I0+2+0+0+1], a[4:7]
/*  mfmaIndex:34  */
/* localReadsVacancy: latencyLeft 2 */
/* pack scheduling: packAIdx:6, packBIdx:2 */
v_perm_b32 v[vgprValuA_X5_I0+6], v[vgprValuA_X5_I0_D1+1], v[vgprValuA_X5_I0_D0+1], s[sgprPackKForV1] // select K=01 for vector=1
v_perm_b32 v[vgprValuA_X5_I0+7], v[vgprValuA_X5_I0_D3+1], v[vgprValuA_X5_I0_D2+1], s[sgprPackKForV1] // select K=23 for vector=1
v_mfma_f32_16x16x16_f16 a[8+0:11+0], v[vgprValuB_X1_I0+0+0+0:vgprValuB_X1_I0+0+0+0+1], v[vgprValuA_X5_I0+4+0+0:vgprValuA_X5_I0+4+0+0+1], a[8:11]
/*  mfmaIndex:35  */
/* localReadsVacancy: latencyLeft 2 */
/* pack scheduling: packAIdx:8, packBIdx:2 */
v_perm_b32 v[vgprValuB_X1_I0+2], v[vgprValuB_X1_I0_D1+0], v[vgprValuB_X1_I0_D0+0], s[sgprPackKForV1] // select K=01 for vector=1
v_perm_b32 v[vgprValuB_X1_I0+3], v[vgprValuB_X1_I0_D3+0], v[vgprValuB_X1_I0_D2+0], s[sgprPackKForV1] // select K=23 for vector=1
v_mfma_f32_16x16x16_f16 a[12+0:15+0], v[vgprValuB_X1_I0+0+0+0:vgprValuB_X1_I0+0+0+0+1], v[vgprValuA_X5_I0+6+0+0:vgprValuA_X5_I0+6+0+0+1], a[12:15]
/*  mfmaIndex:36  */
/* localReadsVacancy: latencyLeft 2 */
/* pack scheduling: packAIdx:8, packBIdx:4 */
v_perm_b32 v[vgprValuB_X1_I0+4], v[vgprValuB_X1_I0_D1+1], v[vgprValuB_X1_I0_D0+1], s[sgprPackKForV0] // select K=01 for vector=0
v_perm_b32 v[vgprValuB_X1_I0+5], v[vgprValuB_X1_I0_D3+1], v[vgprValuB_X1_I0_D2+1], s[sgprPackKForV0] // select K=23 for vector=0
v_mfma_f32_16x16x16_f16 a[28+0:31+0], v[vgprValuB_X1_I0+2+0+0:vgprValuB_X1_I0+2+0+0+1], v[vgprValuA_X5_I0+6+0+0:vgprValuA_X5_I0+6+0+0+1], a[28:31]
/*  mfmaIndex:37  */
/* localReadsVacancy: latencyLeft 2 */
/* pack scheduling: packAIdx:8, packBIdx:4 */
v_perm_b32 v[vgprValuB_X1_I0+6], v[vgprValuB_X1_I0_D1+1], v[vgprValuB_X1_I0_D0+1], s[sgprPackKForV1] // select K=01 for vector=1
v_perm_b32 v[vgprValuB_X1_I0+7], v[vgprValuB_X1_I0_D3+1], v[vgprValuB_X1_I0_D2+1], s[sgprPackKForV1] // select K=23 for vector=1
v_mfma_f32_16x16x16_f16 a[24+0:27+0], v[vgprValuB_X1_I0+2+0+0:vgprValuB_X1_I0+2+0+0+1], v[vgprValuA_X5_I0+4+0+0:vgprValuA_X5_I0+4+0+0+1], a[24:27]
/*  mfmaIndex:38  */
/* localReadsVacancy: latencyLeft 2 */
/* pack scheduling: packAIdx:8, packBIdx:4 */
v_perm_b32 v[vgprValuB_X1_I0+8], v[vgprValuB_X1_I0_D1+2], v[vgprValuB_X1_I0_D0+2], s[sgprPackKForV0] // select K=01 for vector=0
v_perm_b32 v[vgprValuB_X1_I0+9], v[vgprValuB_X1_I0_D3+2], v[vgprValuB_X1_I0_D2+2], s[sgprPackKForV0] // select K=23 for vector=0
	;; [unrolled: 12-line block ×3, first 2 shown]
v_mfma_f32_16x16x16_f16 a[32+0:35+0], v[vgprValuB_X1_I0+4+0+0:vgprValuB_X1_I0+4+0+0+1], v[vgprValuA_X5_I0+0+0+0:vgprValuA_X5_I0+0+0+0+1], a[32:35]
/*  mfmaIndex:41  */
/* localReadsVacancy: latencyLeft 2 */
/* pack scheduling: packAIdx:8, packBIdx:6 */
v_perm_b32 v[vgprValuB_X1_I0+14], v[vgprValuB_X1_I0_D1+3], v[vgprValuB_X1_I0_D0+3], s[sgprPackKForV1] // select K=01 for vector=1
v_perm_b32 v[vgprValuB_X1_I0+15], v[vgprValuB_X1_I0_D3+3], v[vgprValuB_X1_I0_D2+3], s[sgprPackKForV1] // select K=23 for vector=1
v_mfma_f32_16x16x16_f16 a[36+0:39+0], v[vgprValuB_X1_I0+4+0+0:vgprValuB_X1_I0+4+0+0+1], v[vgprValuA_X5_I0+2+0+0:vgprValuA_X5_I0+2+0+0+1], a[36:39]
/*  mfmaIndex:42  */
/* localReadsVacancy: latencyLeft 2 */
v_mfma_f32_16x16x16_f16 a[40+0:43+0], v[vgprValuB_X1_I0+4+0+0:vgprValuB_X1_I0+4+0+0+1], v[vgprValuA_X5_I0+4+0+0:vgprValuA_X5_I0+4+0+0+1], a[40:43]
/*  mfmaIndex:43  */
/* localReadsVacancy: latencyLeft 2 */
	;; [unrolled: 3-line block ×22, first 2 shown]
v_mfma_f32_16x16x16_f16 a[112+0:115+0], v[vgprValuB_X1_I0+14+0+0:vgprValuB_X1_I0+14+0+0+1], v[vgprValuA_X5_I0+0+0+0:vgprValuA_X5_I0+0+0+0+1], a[112:115]
s_setprio 0                                        // store optimization
/* numPrefetchIter=0 */
/* dataAtIterA=0 numReadsIterA=2 skipReadsIterA=1 readsPerIterA=1 */
/* dataAtIterB=0 numReadsIterB=2 skipReadsIterB=1 readsPerIterB=8 */


/* iter 2 (last unrolled loop) */

s_waitcnt vmcnt(4)                                 // lgkmcnt=-1 vmcnt=4global read wait for DirectToVgpr

/*  grEndMfmaIndex:0, lwStartMfmaIndex:108, lwEndMfmaIndex:108  */
/*  numMfmaForLR:13, barrierMfmaIndex:114 */
/*  mfmaIndex:64  */
/* localReadsVacancy: latencyLeft 2 */
s_waitcnt lgkmcnt(0)                               // lgkmcnt=0 vmcnt=-1wait for prior local read local write old=0, new=0 newLW=0 newLR=0
/* pack scheduling: packAIdx:2, packBIdx:2 */
v_perm_b32 v[vgprValuA_X6_I0+0], v[vgprValuA_X6_I0_D1+0], v[vgprValuA_X6_I0_D0+0], s[sgprPackKForV0] // select K=01 for vector=0
v_perm_b32 v[vgprValuA_X6_I0+1], v[vgprValuA_X6_I0_D3+0], v[vgprValuA_X6_I0_D2+0], s[sgprPackKForV0] // select K=23 for vector=0
v_perm_b32 v[vgprValuB_X2_I0+0], v[vgprValuB_X2_I0_D1+0], v[vgprValuB_X2_I0_D0+0], s[sgprPackKForV0] // select K=01 for vector=0
v_perm_b32 v[vgprValuB_X2_I0+1], v[vgprValuB_X2_I0_D3+0], v[vgprValuB_X2_I0_D2+0], s[sgprPackKForV0] // select K=23 for vector=0
v_perm_b32 v[vgprValuA_X6_I0+2], v[vgprValuA_X6_I0_D1+0], v[vgprValuA_X6_I0_D0+0], s[sgprPackKForV1] // select K=01 for vector=1
v_perm_b32 v[vgprValuA_X6_I0+3], v[vgprValuA_X6_I0_D3+0], v[vgprValuA_X6_I0_D2+0], s[sgprPackKForV1] // select K=23 for vector=1
v_mfma_f32_16x16x16_f16 a[0+0:3+0], v[vgprValuB_X2_I0+0+0+0:vgprValuB_X2_I0+0+0+0+1], v[vgprValuA_X6_I0+0+0+0:vgprValuA_X6_I0+0+0+0+1], a[0:3]
/*  mfmaIndex:65  */
/* localReadsVacancy: latencyLeft 2 */
/* pack scheduling: packAIdx:4, packBIdx:2 */
v_perm_b32 v[vgprValuA_X6_I0+4], v[vgprValuA_X6_I0_D1+1], v[vgprValuA_X6_I0_D0+1], s[sgprPackKForV0] // select K=01 for vector=0
v_perm_b32 v[vgprValuA_X6_I0+5], v[vgprValuA_X6_I0_D3+1], v[vgprValuA_X6_I0_D2+1], s[sgprPackKForV0] // select K=23 for vector=0
v_mfma_f32_16x16x16_f16 a[4+0:7+0], v[vgprValuB_X2_I0+0+0+0:vgprValuB_X2_I0+0+0+0+1], v[vgprValuA_X6_I0+2+0+0:vgprValuA_X6_I0+2+0+0+1], a[4:7]
/*  mfmaIndex:66  */
/* localReadsVacancy: latencyLeft 2 */
/* pack scheduling: packAIdx:6, packBIdx:2 */
v_perm_b32 v[vgprValuA_X6_I0+6], v[vgprValuA_X6_I0_D1+1], v[vgprValuA_X6_I0_D0+1], s[sgprPackKForV1] // select K=01 for vector=1
v_perm_b32 v[vgprValuA_X6_I0+7], v[vgprValuA_X6_I0_D3+1], v[vgprValuA_X6_I0_D2+1], s[sgprPackKForV1] // select K=23 for vector=1
v_mfma_f32_16x16x16_f16 a[8+0:11+0], v[vgprValuB_X2_I0+0+0+0:vgprValuB_X2_I0+0+0+0+1], v[vgprValuA_X6_I0+4+0+0:vgprValuA_X6_I0+4+0+0+1], a[8:11]
/*  mfmaIndex:67  */
/* localReadsVacancy: latencyLeft 2 */
/* pack scheduling: packAIdx:8, packBIdx:2 */
v_perm_b32 v[vgprValuB_X2_I0+2], v[vgprValuB_X2_I0_D1+0], v[vgprValuB_X2_I0_D0+0], s[sgprPackKForV1] // select K=01 for vector=1
v_perm_b32 v[vgprValuB_X2_I0+3], v[vgprValuB_X2_I0_D3+0], v[vgprValuB_X2_I0_D2+0], s[sgprPackKForV1] // select K=23 for vector=1
v_mfma_f32_16x16x16_f16 a[12+0:15+0], v[vgprValuB_X2_I0+0+0+0:vgprValuB_X2_I0+0+0+0+1], v[vgprValuA_X6_I0+6+0+0:vgprValuA_X6_I0+6+0+0+1], a[12:15]
/*  mfmaIndex:68  */
/* localReadsVacancy: latencyLeft 2 */
/* pack scheduling: packAIdx:8, packBIdx:4 */
v_perm_b32 v[vgprValuB_X2_I0+4], v[vgprValuB_X2_I0_D1+1], v[vgprValuB_X2_I0_D0+1], s[sgprPackKForV0] // select K=01 for vector=0
v_perm_b32 v[vgprValuB_X2_I0+5], v[vgprValuB_X2_I0_D3+1], v[vgprValuB_X2_I0_D2+1], s[sgprPackKForV0] // select K=23 for vector=0
v_mfma_f32_16x16x16_f16 a[28+0:31+0], v[vgprValuB_X2_I0+2+0+0:vgprValuB_X2_I0+2+0+0+1], v[vgprValuA_X6_I0+6+0+0:vgprValuA_X6_I0+6+0+0+1], a[28:31]
/*  mfmaIndex:69  */
/* localReadsVacancy: latencyLeft 2 */
/* pack scheduling: packAIdx:8, packBIdx:4 */
v_perm_b32 v[vgprValuB_X2_I0+6], v[vgprValuB_X2_I0_D1+1], v[vgprValuB_X2_I0_D0+1], s[sgprPackKForV1] // select K=01 for vector=1
v_perm_b32 v[vgprValuB_X2_I0+7], v[vgprValuB_X2_I0_D3+1], v[vgprValuB_X2_I0_D2+1], s[sgprPackKForV1] // select K=23 for vector=1
v_mfma_f32_16x16x16_f16 a[24+0:27+0], v[vgprValuB_X2_I0+2+0+0:vgprValuB_X2_I0+2+0+0+1], v[vgprValuA_X6_I0+4+0+0:vgprValuA_X6_I0+4+0+0+1], a[24:27]
/*  mfmaIndex:70  */
/* localReadsVacancy: latencyLeft 2 */
/* pack scheduling: packAIdx:8, packBIdx:4 */
v_perm_b32 v[vgprValuB_X2_I0+8], v[vgprValuB_X2_I0_D1+2], v[vgprValuB_X2_I0_D0+2], s[sgprPackKForV0] // select K=01 for vector=0
v_perm_b32 v[vgprValuB_X2_I0+9], v[vgprValuB_X2_I0_D3+2], v[vgprValuB_X2_I0_D2+2], s[sgprPackKForV0] // select K=23 for vector=0
	;; [unrolled: 12-line block ×3, first 2 shown]
v_mfma_f32_16x16x16_f16 a[32+0:35+0], v[vgprValuB_X2_I0+4+0+0:vgprValuB_X2_I0+4+0+0+1], v[vgprValuA_X6_I0+0+0+0:vgprValuA_X6_I0+0+0+0+1], a[32:35]
/*  mfmaIndex:73  */
/* localReadsVacancy: latencyLeft 2 */
/* pack scheduling: packAIdx:8, packBIdx:6 */
v_perm_b32 v[vgprValuB_X2_I0+14], v[vgprValuB_X2_I0_D1+3], v[vgprValuB_X2_I0_D0+3], s[sgprPackKForV1] // select K=01 for vector=1
v_perm_b32 v[vgprValuB_X2_I0+15], v[vgprValuB_X2_I0_D3+3], v[vgprValuB_X2_I0_D2+3], s[sgprPackKForV1] // select K=23 for vector=1
v_mfma_f32_16x16x16_f16 a[36+0:39+0], v[vgprValuB_X2_I0+4+0+0:vgprValuB_X2_I0+4+0+0+1], v[vgprValuA_X6_I0+2+0+0:vgprValuA_X6_I0+2+0+0+1], a[36:39]
/*  mfmaIndex:74  */
/* localReadsVacancy: latencyLeft 2 */
v_mfma_f32_16x16x16_f16 a[40+0:43+0], v[vgprValuB_X2_I0+4+0+0:vgprValuB_X2_I0+4+0+0+1], v[vgprValuA_X6_I0+4+0+0:vgprValuA_X6_I0+4+0+0+1], a[40:43]
/*  mfmaIndex:75  */
/* localReadsVacancy: latencyLeft 2 */
	;; [unrolled: 3-line block ×22, first 2 shown]
v_mfma_f32_16x16x16_f16 a[112+0:115+0], v[vgprValuB_X2_I0+14+0+0:vgprValuB_X2_I0+14+0+0+1], v[vgprValuA_X6_I0+0+0+0:vgprValuA_X6_I0+0+0+0+1], a[112:115]
/* numPrefetchIter=0 */
/* dataAtIterA=1 numReadsIterA=3 skipReadsIterA=1 readsPerIterA=1 */
/* dataAtIterB=1 numReadsIterB=3 skipReadsIterB=1 readsPerIterB=8 */


/* iter 3 (last unrolled loop) */

s_waitcnt vmcnt(0)                                 // lgkmcnt=-1 vmcnt=0global read wait for DirectToVgpr

/*  grEndMfmaIndex:0, lwStartMfmaIndex:108, lwEndMfmaIndex:108  */
/*  numMfmaForLR:13, barrierMfmaIndex:114 */
/*  mfmaIndex:96  */
s_waitcnt lgkmcnt(0)                               // lgkmcnt=0 vmcnt=-1wait for prior local read local write old=0, new=0 newLW=0 newLR=0
/* pack scheduling: packAIdx:2, packBIdx:2 */
v_perm_b32 v[vgprValuA_X7_I0+0], v[vgprValuA_X7_I0_D1+0], v[vgprValuA_X7_I0_D0+0], s[sgprPackKForV0] // select K=01 for vector=0
v_perm_b32 v[vgprValuA_X7_I0+1], v[vgprValuA_X7_I0_D3+0], v[vgprValuA_X7_I0_D2+0], s[sgprPackKForV0] // select K=23 for vector=0
v_perm_b32 v[vgprValuB_X3_I0+0], v[vgprValuB_X3_I0_D1+0], v[vgprValuB_X3_I0_D0+0], s[sgprPackKForV0] // select K=01 for vector=0
v_perm_b32 v[vgprValuB_X3_I0+1], v[vgprValuB_X3_I0_D3+0], v[vgprValuB_X3_I0_D2+0], s[sgprPackKForV0] // select K=23 for vector=0
v_perm_b32 v[vgprValuA_X7_I0+2], v[vgprValuA_X7_I0_D1+0], v[vgprValuA_X7_I0_D0+0], s[sgprPackKForV1] // select K=01 for vector=1
v_perm_b32 v[vgprValuA_X7_I0+3], v[vgprValuA_X7_I0_D3+0], v[vgprValuA_X7_I0_D2+0], s[sgprPackKForV1] // select K=23 for vector=1
v_mfma_f32_16x16x16_f16 a[0+0:3+0], v[vgprValuB_X3_I0+0+0+0:vgprValuB_X3_I0+0+0+0+1], v[vgprValuA_X7_I0+0+0+0:vgprValuA_X7_I0+0+0+0+1], a[0:3]
/*  mfmaIndex:97  */
/* pack scheduling: packAIdx:4, packBIdx:2 */
v_perm_b32 v[vgprValuA_X7_I0+4], v[vgprValuA_X7_I0_D1+1], v[vgprValuA_X7_I0_D0+1], s[sgprPackKForV0] // select K=01 for vector=0
v_perm_b32 v[vgprValuA_X7_I0+5], v[vgprValuA_X7_I0_D3+1], v[vgprValuA_X7_I0_D2+1], s[sgprPackKForV0] // select K=23 for vector=0
v_mfma_f32_16x16x16_f16 a[4+0:7+0], v[vgprValuB_X3_I0+0+0+0:vgprValuB_X3_I0+0+0+0+1], v[vgprValuA_X7_I0+2+0+0:vgprValuA_X7_I0+2+0+0+1], a[4:7]
/*  mfmaIndex:98  */
/* pack scheduling: packAIdx:6, packBIdx:2 */
v_perm_b32 v[vgprValuA_X7_I0+6], v[vgprValuA_X7_I0_D1+1], v[vgprValuA_X7_I0_D0+1], s[sgprPackKForV1] // select K=01 for vector=1
v_perm_b32 v[vgprValuA_X7_I0+7], v[vgprValuA_X7_I0_D3+1], v[vgprValuA_X7_I0_D2+1], s[sgprPackKForV1] // select K=23 for vector=1
v_mfma_f32_16x16x16_f16 a[8+0:11+0], v[vgprValuB_X3_I0+0+0+0:vgprValuB_X3_I0+0+0+0+1], v[vgprValuA_X7_I0+4+0+0:vgprValuA_X7_I0+4+0+0+1], a[8:11]
/*  mfmaIndex:99  */
/* pack scheduling: packAIdx:8, packBIdx:2 */
v_perm_b32 v[vgprValuB_X3_I0+2], v[vgprValuB_X3_I0_D1+0], v[vgprValuB_X3_I0_D0+0], s[sgprPackKForV1] // select K=01 for vector=1
v_perm_b32 v[vgprValuB_X3_I0+3], v[vgprValuB_X3_I0_D3+0], v[vgprValuB_X3_I0_D2+0], s[sgprPackKForV1] // select K=23 for vector=1
v_mfma_f32_16x16x16_f16 a[12+0:15+0], v[vgprValuB_X3_I0+0+0+0:vgprValuB_X3_I0+0+0+0+1], v[vgprValuA_X7_I0+6+0+0:vgprValuA_X7_I0+6+0+0+1], a[12:15]
/*  mfmaIndex:100  */
/* pack scheduling: packAIdx:8, packBIdx:4 */
v_perm_b32 v[vgprValuB_X3_I0+4], v[vgprValuB_X3_I0_D1+1], v[vgprValuB_X3_I0_D0+1], s[sgprPackKForV0] // select K=01 for vector=0
v_perm_b32 v[vgprValuB_X3_I0+5], v[vgprValuB_X3_I0_D3+1], v[vgprValuB_X3_I0_D2+1], s[sgprPackKForV0] // select K=23 for vector=0
v_mfma_f32_16x16x16_f16 a[28+0:31+0], v[vgprValuB_X3_I0+2+0+0:vgprValuB_X3_I0+2+0+0+1], v[vgprValuA_X7_I0+6+0+0:vgprValuA_X7_I0+6+0+0+1], a[28:31]
/*  mfmaIndex:101  */
/* pack scheduling: packAIdx:8, packBIdx:4 */
v_perm_b32 v[vgprValuB_X3_I0+6], v[vgprValuB_X3_I0_D1+1], v[vgprValuB_X3_I0_D0+1], s[sgprPackKForV1] // select K=01 for vector=1
v_perm_b32 v[vgprValuB_X3_I0+7], v[vgprValuB_X3_I0_D3+1], v[vgprValuB_X3_I0_D2+1], s[sgprPackKForV1] // select K=23 for vector=1
v_mfma_f32_16x16x16_f16 a[24+0:27+0], v[vgprValuB_X3_I0+2+0+0:vgprValuB_X3_I0+2+0+0+1], v[vgprValuA_X7_I0+4+0+0:vgprValuA_X7_I0+4+0+0+1], a[24:27]
/*  mfmaIndex:102  */
/* pack scheduling: packAIdx:8, packBIdx:4 */
v_perm_b32 v[vgprValuB_X3_I0+8], v[vgprValuB_X3_I0_D1+2], v[vgprValuB_X3_I0_D0+2], s[sgprPackKForV0] // select K=01 for vector=0
v_perm_b32 v[vgprValuB_X3_I0+9], v[vgprValuB_X3_I0_D3+2], v[vgprValuB_X3_I0_D2+2], s[sgprPackKForV0] // select K=23 for vector=0
	;; [unrolled: 10-line block ×3, first 2 shown]
v_mfma_f32_16x16x16_f16 a[32+0:35+0], v[vgprValuB_X3_I0+4+0+0:vgprValuB_X3_I0+4+0+0+1], v[vgprValuA_X7_I0+0+0+0:vgprValuA_X7_I0+0+0+0+1], a[32:35]
/*  mfmaIndex:105  */
/* pack scheduling: packAIdx:8, packBIdx:6 */
v_perm_b32 v[vgprValuB_X3_I0+14], v[vgprValuB_X3_I0_D1+3], v[vgprValuB_X3_I0_D0+3], s[sgprPackKForV1] // select K=01 for vector=1
v_perm_b32 v[vgprValuB_X3_I0+15], v[vgprValuB_X3_I0_D3+3], v[vgprValuB_X3_I0_D2+3], s[sgprPackKForV1] // select K=23 for vector=1
v_mfma_f32_16x16x16_f16 a[36+0:39+0], v[vgprValuB_X3_I0+4+0+0:vgprValuB_X3_I0+4+0+0+1], v[vgprValuA_X7_I0+2+0+0:vgprValuA_X7_I0+2+0+0+1], a[36:39]
/*  mfmaIndex:106  */
v_mfma_f32_16x16x16_f16 a[40+0:43+0], v[vgprValuB_X3_I0+4+0+0:vgprValuB_X3_I0+4+0+0+1], v[vgprValuA_X7_I0+4+0+0:vgprValuA_X7_I0+4+0+0+1], a[40:43]
/*  mfmaIndex:107  */
/* 1 LDS buffer: read-sync-write */
s_waitcnt lgkmcnt(0)                               // 
s_barrier                                          // 
v_mfma_f32_16x16x16_f16 a[44+0:47+0], v[vgprValuB_X3_I0+4+0+0:vgprValuB_X3_I0+4+0+0+1], v[vgprValuA_X7_I0+6+0+0:vgprValuA_X7_I0+6+0+0+1], a[44:47]
/*  mfmaIndex:108  */
v_mfma_f32_16x16x16_f16 a[60+0:63+0], v[vgprValuB_X3_I0+6+0+0:vgprValuB_X3_I0+6+0+0+1], v[vgprValuA_X7_I0+6+0+0:vgprValuA_X7_I0+6+0+0+1], a[60:63]
/*  mfmaIndex:109  */
	;; [unrolled: 2-line block ×20, first 2 shown]
v_mfma_f32_16x16x16_f16 a[112+0:115+0], v[vgprValuB_X3_I0+14+0+0:vgprValuB_X3_I0+14+0+0+1], v[vgprValuA_X7_I0+0+0+0:vgprValuA_X7_I0+0+0+0+1], a[112:115]
/* numPrefetchIter=0 */
/* dataAtIterA=2 numReadsIterA=3 skipReadsIterA=0 readsPerIterA=1 */
/* dataAtIterB=2 numReadsIterB=3 skipReadsIterB=0 readsPerIterB=8 */

label_0029: // EvenEndNoLoadLoopOrd 

PrefetchGlobalLastIterEnd_5:

Summation_End_30:
s_setprio 0                                        // optimization store
/* endSummation: add vgpr [0...194) to pool */
.set NumFullBlocks, UNDEF
.set WgmRemainder1, UNDEF
.set MagicNumberWgmRemainder1, UNDEF

/* Mapping of Acc register -> C Vgpr register */


	;; [unrolled: 1-line block ×3, first 2 shown]
/* not-LocalSplitU: global write indices */

/* computeStoreVgprs */
v_lshrrev_b32 v4, 6, v[vgprSerial]                 // v4 = v[vgprSerial] / 64
v_and_b32 v1, 63, v[vgprSerial]                    // v1 = v[vgprSerial] % 64
v_lshrrev_b32 v1, 4, v1                            // v1 = v1 / 16
v_lshlrev_b32 v1, 0x2, v1                          // thread0 * continuous_output
v_lshrrev_b32 v5, 2, v4                            // v5 = v4 / 4
v_mul_lo_u32 v5, 0x10, v5                          // wave coordination offset 1
_v_add_lshl_u32 v1, v5, v1, 2                      // coordination 1 = vwb *(wave_id1 + tid1)
v_mul_lo_u32 v2, v1, s[sgprStrideC1J]              //  offset 1
v_mul_lo_u32 v3, v1, s[sgprStrideD1J]              //  offset 1
v_and_b32 v5, 3, v4                                // v5 = v4 % 4
v_mul_lo_u32 v5, 0x10, v5                          // wave coordination offset 0
v_and_b32 v0, 15, v[vgprSerial]                    // v0 = v[vgprSerial] % 16
_v_add_lshl_u32 v0, v5, v0, 2                      // coordination 0 = vwa *(wave_id0 + tid0)
s_mul_i32 s33, 256, s[sgprWorkGroup0]              // wgp0 * MT0
_v_add_u32 v0, s33, v0                             // coord 0 = (tid0/MI_m)*4 + waveG0*MIB_m + MT0*SG0
s_mul_i32 s33, 128, s[sgprWorkGroup1]              // wgp1 * MT1
_v_add_u32 v1, s33, v1                             // coord 1 = (tid0%MI_m) + waveG1*MIB_n + MT1*SG1


/* not-LocalSplitU: global write */

s_cmpk_eq_u32 s[sgprBeta], 0x0                     // Beta == 0
s_cbranch_scc0 GW_Beta_45                          // Branch if Beta is not zero

s_and_b32 s52, 255, s[sgprSizeI]                   // s52 = s[sgprSizeI] % 256
s_add_u32 s53, -0x1, s[sgprNumWorkGroups0]         // 
s_cmp_ge_u32 s[sgprWorkGroup0], s53                // wg0 >= nwg0-1 ?
s_cselect_b32 s52, s52, 0                          // set rMT0
s_cmpk_gt_u32 s52, 0x0                             // rMT0 > 0
s_cbranch_scc1 GW_B0_E1_36                         // jump if edges required
s_and_b32 s52, 127, s[sgprSizeJ]                   // s52 = s[sgprSizeJ] % 128
s_add_u32 s53, -0x1, s[sgprNumWorkGroups1]         // 
s_cmp_ge_u32 s[sgprWorkGroup1], s53                // wg1 >= nwg1-1
s_cselect_b32 s52, s52, 0                          // set rMT1
s_cmpk_gt_u32 s52, 0x0                             // rMT1 > 0
s_cbranch_scc1 GW_B0_E1_36                         // jump if edges required
GW_B0_E0_33:

/* edge=0, allocate 2 sgpr. perBatchTmpS=2 perBatchMaskS=0 perElementMaskS=0 elementsPerBatch=60 */
/* optSingleColVgpr=1 optSharedColVgpr=0 optSGPRUsage=BufferLoad_Mask optSrdIncForRow=1 */
s_sleep 3 // optimization: sync and wait
s_barrier

/******************************************/
/* Global Write Alpha Batch #0 (d1,d0,vc1,vc0) = */
/*    (0,0,0,0:vw4); (0,0,1,0:vw4); (0,0,2,0:vw4); (0,0,3,0:vw4); (0,0,4,0:vw4); (0,0,5,0:vw4); (0,0,6,0:vw4); (0,0,7,0:vw4); (0,0,8,0:vw4); (0,0,9,0:vw4); (0,0,10,0:vw4); (0,0,11,0:vw4); (0,0,12,0:vw4); (0,0,13,0:vw4); (0,0,14,0:vw4); (0,0,15,0:vw4); (1,0,0,0:vw4); (1,0,1,0:vw4); (1,0,2,0:vw4); (1,0,3,0:vw4); (1,0,4,0:vw4); (1,0,5,0:vw4); (1,0,6,0:vw4); (1,0,7,0:vw4); (1,0,8,0:vw4); (1,0,9,0:vw4); (1,0,10,0:vw4); (1,0,11,0:vw4); (1,0,12,0:vw4); (1,0,13,0:vw4); (1,0,14,0:vw4); (1,0,15,0:vw4) */
/******************************************/

/* calc coords, apply mask, and issue loads (if necessary) */
/* (d1,vc1,d0,vc0)=(0,0,0,0) */
/* (d1,vc1,d0,vc0)=(0,1,0,0) */
	;; [unrolled: 1-line block ×32, first 2 shown]
_v_add_lshl_u32 v6, v3, v0, 0x1                    // optSingleColVgpr scaleToBpe: sharedAddrVgpr <- cinRowPtr + coord0, scaled by BPE. BSHERE:coord0=0, coord0Vgpr=0
v_accvgpr_read_b32 v[vgprValuC+8], acc0 // copy acc to vreg[0]
v_accvgpr_read_b32 v[vgprValuC+9], acc4 // copy acc to vreg[1]
v_accvgpr_read_b32 v[vgprValuC+10], acc8 // copy acc to vreg[2]
v_accvgpr_read_b32 v[vgprValuC+11], acc12 // copy acc to vreg[3]
v_accvgpr_read_b32 v[vgprValuC+12], acc16 // copy acc to vreg[4]
v_accvgpr_read_b32 v[vgprValuC+13], acc20 // copy acc to vreg[5]
v_accvgpr_read_b32 v[vgprValuC+14], acc24 // copy acc to vreg[6]
v_accvgpr_read_b32 v[vgprValuC+15], acc28 // copy acc to vreg[7]
v_accvgpr_read_b32 v[vgprValuC+16], acc32 // copy acc to vreg[8]
v_accvgpr_read_b32 v[vgprValuC+17], acc36 // copy acc to vreg[9]
v_accvgpr_read_b32 v[vgprValuC+18], acc40 // copy acc to vreg[10]
v_accvgpr_read_b32 v[vgprValuC+19], acc44 // copy acc to vreg[11]
v_accvgpr_read_b32 v[vgprValuC+20], acc48 // copy acc to vreg[12]
v_accvgpr_read_b32 v[vgprValuC+21], acc52 // copy acc to vreg[13]
v_accvgpr_read_b32 v[vgprValuC+22], acc56 // copy acc to vreg[14]
v_accvgpr_read_b32 v[vgprValuC+23], acc60 // copy acc to vreg[15]
v_accvgpr_read_b32 v[vgprValuC+24], acc1 // copy acc to vreg[16]
v_accvgpr_read_b32 v[vgprValuC+25], acc5 // copy acc to vreg[17]
v_accvgpr_read_b32 v[vgprValuC+26], acc9 // copy acc to vreg[18]
v_accvgpr_read_b32 v[vgprValuC+27], acc13 // copy acc to vreg[19]
v_accvgpr_read_b32 v[vgprValuC+28], acc17 // copy acc to vreg[20]
v_accvgpr_read_b32 v[vgprValuC+29], acc21 // copy acc to vreg[21]
v_accvgpr_read_b32 v[vgprValuC+30], acc25 // copy acc to vreg[22]
v_accvgpr_read_b32 v[vgprValuC+31], acc29 // copy acc to vreg[23]
v_accvgpr_read_b32 v[vgprValuC+32], acc33 // copy acc to vreg[24]
v_accvgpr_read_b32 v[vgprValuC+33], acc37 // copy acc to vreg[25]
v_accvgpr_read_b32 v[vgprValuC+34], acc41 // copy acc to vreg[26]
v_accvgpr_read_b32 v[vgprValuC+35], acc45 // copy acc to vreg[27]
v_accvgpr_read_b32 v[vgprValuC+36], acc49 // copy acc to vreg[28]
v_accvgpr_read_b32 v[vgprValuC+37], acc53 // copy acc to vreg[29]
v_accvgpr_read_b32 v[vgprValuC+38], acc57 // copy acc to vreg[30]
v_accvgpr_read_b32 v[vgprValuC+39], acc61 // copy acc to vreg[31]
v_accvgpr_read_b32 v[vgprValuC+40], acc2 // copy acc to vreg[32]
v_accvgpr_read_b32 v[vgprValuC+41], acc6 // copy acc to vreg[33]
v_accvgpr_read_b32 v[vgprValuC+42], acc10 // copy acc to vreg[34]
v_accvgpr_read_b32 v[vgprValuC+43], acc14 // copy acc to vreg[35]
v_accvgpr_read_b32 v[vgprValuC+44], acc18 // copy acc to vreg[36]
v_accvgpr_read_b32 v[vgprValuC+45], acc22 // copy acc to vreg[37]
v_accvgpr_read_b32 v[vgprValuC+46], acc26 // copy acc to vreg[38]
v_accvgpr_read_b32 v[vgprValuC+47], acc30 // copy acc to vreg[39]
v_accvgpr_read_b32 v[vgprValuC+48], acc34 // copy acc to vreg[40]
v_accvgpr_read_b32 v[vgprValuC+49], acc38 // copy acc to vreg[41]
v_accvgpr_read_b32 v[vgprValuC+50], acc42 // copy acc to vreg[42]
v_accvgpr_read_b32 v[vgprValuC+51], acc46 // copy acc to vreg[43]
v_accvgpr_read_b32 v[vgprValuC+52], acc50 // copy acc to vreg[44]
v_accvgpr_read_b32 v[vgprValuC+53], acc54 // copy acc to vreg[45]
v_accvgpr_read_b32 v[vgprValuC+54], acc58 // copy acc to vreg[46]
v_accvgpr_read_b32 v[vgprValuC+55], acc62 // copy acc to vreg[47]
v_accvgpr_read_b32 v[vgprValuC+56], acc3 // copy acc to vreg[48]
v_accvgpr_read_b32 v[vgprValuC+57], acc7 // copy acc to vreg[49]
v_accvgpr_read_b32 v[vgprValuC+58], acc11 // copy acc to vreg[50]
v_accvgpr_read_b32 v[vgprValuC+59], acc15 // copy acc to vreg[51]
v_accvgpr_read_b32 v[vgprValuC+60], acc19 // copy acc to vreg[52]
v_accvgpr_read_b32 v[vgprValuC+61], acc23 // copy acc to vreg[53]
v_accvgpr_read_b32 v[vgprValuC+62], acc27 // copy acc to vreg[54]
v_accvgpr_read_b32 v[vgprValuC+63], acc31 // copy acc to vreg[55]
v_accvgpr_read_b32 v[vgprValuC+64], acc35 // copy acc to vreg[56]
v_accvgpr_read_b32 v[vgprValuC+65], acc39 // copy acc to vreg[57]
v_accvgpr_read_b32 v[vgprValuC+66], acc43 // copy acc to vreg[58]
v_accvgpr_read_b32 v[vgprValuC+67], acc47 // copy acc to vreg[59]
v_accvgpr_read_b32 v[vgprValuC+68], acc51 // copy acc to vreg[60]
v_accvgpr_read_b32 v[vgprValuC+69], acc55 // copy acc to vreg[61]
v_accvgpr_read_b32 v[vgprValuC+70], acc59 // copy acc to vreg[62]
v_accvgpr_read_b32 v[vgprValuC+71], acc63 // copy acc to vreg[63]
v_accvgpr_read_b32 v[vgprValuC+72], acc64 // copy acc to vreg[64]
v_accvgpr_read_b32 v[vgprValuC+73], acc68 // copy acc to vreg[65]
v_accvgpr_read_b32 v[vgprValuC+74], acc72 // copy acc to vreg[66]
v_accvgpr_read_b32 v[vgprValuC+75], acc76 // copy acc to vreg[67]
v_accvgpr_read_b32 v[vgprValuC+76], acc80 // copy acc to vreg[68]
v_accvgpr_read_b32 v[vgprValuC+77], acc84 // copy acc to vreg[69]
v_accvgpr_read_b32 v[vgprValuC+78], acc88 // copy acc to vreg[70]
v_accvgpr_read_b32 v[vgprValuC+79], acc92 // copy acc to vreg[71]
v_accvgpr_read_b32 v[vgprValuC+80], acc96 // copy acc to vreg[72]
v_accvgpr_read_b32 v[vgprValuC+81], acc100 // copy acc to vreg[73]
v_accvgpr_read_b32 v[vgprValuC+82], acc104 // copy acc to vreg[74]
v_accvgpr_read_b32 v[vgprValuC+83], acc108 // copy acc to vreg[75]
v_accvgpr_read_b32 v[vgprValuC+84], acc112 // copy acc to vreg[76]
v_accvgpr_read_b32 v[vgprValuC+85], acc116 // copy acc to vreg[77]
v_accvgpr_read_b32 v[vgprValuC+86], acc120 // copy acc to vreg[78]
v_accvgpr_read_b32 v[vgprValuC+87], acc124 // copy acc to vreg[79]
v_accvgpr_read_b32 v[vgprValuC+88], acc65 // copy acc to vreg[80]
v_accvgpr_read_b32 v[vgprValuC+89], acc69 // copy acc to vreg[81]
v_accvgpr_read_b32 v[vgprValuC+90], acc73 // copy acc to vreg[82]
v_accvgpr_read_b32 v[vgprValuC+91], acc77 // copy acc to vreg[83]
v_accvgpr_read_b32 v[vgprValuC+92], acc81 // copy acc to vreg[84]
v_accvgpr_read_b32 v[vgprValuC+93], acc85 // copy acc to vreg[85]
v_accvgpr_read_b32 v[vgprValuC+94], acc89 // copy acc to vreg[86]
v_accvgpr_read_b32 v[vgprValuC+95], acc93 // copy acc to vreg[87]
v_accvgpr_read_b32 v[vgprValuC+96], acc97 // copy acc to vreg[88]
v_accvgpr_read_b32 v[vgprValuC+97], acc101 // copy acc to vreg[89]
v_accvgpr_read_b32 v[vgprValuC+98], acc105 // copy acc to vreg[90]
v_accvgpr_read_b32 v[vgprValuC+99], acc109 // copy acc to vreg[91]
v_accvgpr_read_b32 v[vgprValuC+100], acc113 // copy acc to vreg[92]
v_accvgpr_read_b32 v[vgprValuC+101], acc117 // copy acc to vreg[93]
v_accvgpr_read_b32 v[vgprValuC+102], acc121 // copy acc to vreg[94]
v_accvgpr_read_b32 v[vgprValuC+103], acc125 // copy acc to vreg[95]
v_accvgpr_read_b32 v[vgprValuC+104], acc66 // copy acc to vreg[96]
v_accvgpr_read_b32 v[vgprValuC+105], acc70 // copy acc to vreg[97]
v_accvgpr_read_b32 v[vgprValuC+106], acc74 // copy acc to vreg[98]
v_accvgpr_read_b32 v[vgprValuC+107], acc78 // copy acc to vreg[99]
v_accvgpr_read_b32 v[vgprValuC+108], acc82 // copy acc to vreg[100]
v_accvgpr_read_b32 v[vgprValuC+109], acc86 // copy acc to vreg[101]
v_accvgpr_read_b32 v[vgprValuC+110], acc90 // copy acc to vreg[102]
v_accvgpr_read_b32 v[vgprValuC+111], acc94 // copy acc to vreg[103]
v_accvgpr_read_b32 v[vgprValuC+112], acc98 // copy acc to vreg[104]
v_accvgpr_read_b32 v[vgprValuC+113], acc102 // copy acc to vreg[105]
v_accvgpr_read_b32 v[vgprValuC+114], acc106 // copy acc to vreg[106]
v_accvgpr_read_b32 v[vgprValuC+115], acc110 // copy acc to vreg[107]
v_accvgpr_read_b32 v[vgprValuC+116], acc114 // copy acc to vreg[108]
v_accvgpr_read_b32 v[vgprValuC+117], acc118 // copy acc to vreg[109]
v_accvgpr_read_b32 v[vgprValuC+118], acc122 // copy acc to vreg[110]
v_accvgpr_read_b32 v[vgprValuC+119], acc126 // copy acc to vreg[111]
v_accvgpr_read_b32 v[vgprValuC+120], acc67 // copy acc to vreg[112]
v_accvgpr_read_b32 v[vgprValuC+121], acc71 // copy acc to vreg[113]
v_accvgpr_read_b32 v[vgprValuC+122], acc75 // copy acc to vreg[114]
v_accvgpr_read_b32 v[vgprValuC+123], acc79 // copy acc to vreg[115]
v_accvgpr_read_b32 v[vgprValuC+124], acc83 // copy acc to vreg[116]
v_accvgpr_read_b32 v[vgprValuC+125], acc87 // copy acc to vreg[117]
v_accvgpr_read_b32 v[vgprValuC+126], acc91 // copy acc to vreg[118]
v_accvgpr_read_b32 v[vgprValuC+127], acc95 // copy acc to vreg[119]
v_accvgpr_read_b32 v[vgprValuC+128], acc99 // copy acc to vreg[120]
v_accvgpr_read_b32 v[vgprValuC+129], acc103 // copy acc to vreg[121]
v_accvgpr_read_b32 v[vgprValuC+130], acc107 // copy acc to vreg[122]
v_accvgpr_read_b32 v[vgprValuC+131], acc111 // copy acc to vreg[123]
v_accvgpr_read_b32 v[vgprValuC+132], acc115 // copy acc to vreg[124]
v_accvgpr_read_b32 v[vgprValuC+133], acc119 // copy acc to vreg[125]
v_accvgpr_read_b32 v[vgprValuC+134], acc123 // copy acc to vreg[126]
v_accvgpr_read_b32 v[vgprValuC+135], acc127 // copy acc to vreg[127]
s_nop 1                                            // 2 wait states required before reading vgpr

/* rC *= alpha batchElements=[(0, 0, 0, 0), (0, 0, 1, 0), (0, 0, 2, 0), (0, 0, 3, 0), (0, 0, 4, 0), (0, 0, 5, 0), (0, 0, 6, 0), (0, 0, 7, 0), (0, 0, 8, 0), (0, 0, 9, 0), (0, 0, 10, 0), (0, 0, 11, 0), (0, 0, 12, 0), (0, 0, 13, 0), (0, 0, 14, 0), (0, 0, 15, 0), (1, 0, 0, 0), (1, 0, 1, 0), (1, 0, 2, 0), (1, 0, 3, 0), (1, 0, 4, 0), (1, 0, 5, 0), (1, 0, 6, 0), (1, 0, 7, 0), (1, 0, 8, 0), (1, 0, 9, 0), (1, 0, 10, 0), (1, 0, 11, 0), (1, 0, 12, 0), (1, 0, 13, 0), (1, 0, 14, 0), (1, 0, 15, 0)] */
v_mul_f32 v[vgprValuC+8], s[sgprAlpha], v[vgprValuC+8] // *= alpha
v_mul_f32 v[vgprValuC+9], s[sgprAlpha], v[vgprValuC+9] // *= alpha
	;; [unrolled: 1-line block ×128, first 2 shown]

/* apply mask, calc new C and issue writes */
v_cvt_f16_f32 v[vgprValuC+8], v[vgprValuC+8]       // convert C to fp16
v_cvt_f16_f32 v[vgprValuC+9], v[vgprValuC+9]       // convert C to fp16
v_pack_b32_f16 v8, v[vgprValuC+8], v[vgprValuC+9]  // Pack with neighbor
v_cvt_f16_f32 v[vgprValuC+10], v[vgprValuC+10]     // convert C to fp16
v_cvt_f16_f32 v[vgprValuC+11], v[vgprValuC+11]     // convert C to fp16
v_pack_b32_f16 v9, v[vgprValuC+10], v[vgprValuC+11] // Pack with neighbor
_buffer_store_b64 v[8:9], v6, s[sgprSrdD:sgprSrdD+3], 0, offen, offset:0,  sc0 // store D
v_cvt_f16_f32 v[vgprValuC+12], v[vgprValuC+12]     // convert C to fp16
v_cvt_f16_f32 v[vgprValuC+13], v[vgprValuC+13]     // convert C to fp16
v_pack_b32_f16 v12, v[vgprValuC+12], v[vgprValuC+13] // Pack with neighbor
v_cvt_f16_f32 v[vgprValuC+14], v[vgprValuC+14]     // convert C to fp16
v_cvt_f16_f32 v[vgprValuC+15], v[vgprValuC+15]     // convert C to fp16
v_pack_b32_f16 v13, v[vgprValuC+14], v[vgprValuC+15] // Pack with neighbor
s_lshl_b32  s34, s[sgprStrideD1J], 1               // incToNextRow: Scale by BPE
s_add_u32  s[sgprSrdD+0], s[sgprSrdD+0], s34       // incToNextRow: gra SRD += inc(lower)
s_addc_u32  s[sgprSrdD+1], s[sgprSrdD+1], 0        // incToNextRow: gra SRD += inc(upper)
_buffer_store_b64 v[12:13], v6, s[sgprSrdD:sgprSrdD+3], 0, offen, offset:0,  sc0 // store D
v_cvt_f16_f32 v[vgprValuC+16], v[vgprValuC+16]     // convert C to fp16
v_cvt_f16_f32 v[vgprValuC+17], v[vgprValuC+17]     // convert C to fp16
v_pack_b32_f16 v16, v[vgprValuC+16], v[vgprValuC+17] // Pack with neighbor
v_cvt_f16_f32 v[vgprValuC+18], v[vgprValuC+18]     // convert C to fp16
v_cvt_f16_f32 v[vgprValuC+19], v[vgprValuC+19]     // convert C to fp16
v_pack_b32_f16 v17, v[vgprValuC+18], v[vgprValuC+19] // Pack with neighbor
s_lshl_b32  s34, s[sgprStrideD1J], 1               // incToNextRow: Scale by BPE
s_add_u32  s[sgprSrdD+0], s[sgprSrdD+0], s34       // incToNextRow: gra SRD += inc(lower)
s_addc_u32  s[sgprSrdD+1], s[sgprSrdD+1], 0        // incToNextRow: gra SRD += inc(upper)
	;; [unrolled: 10-line block ×15, first 2 shown]
_buffer_store_b64 v[68:69], v6, s[sgprSrdD:sgprSrdD+3], 0, offen, offset:0,  sc0 // store D
v_cvt_f16_f32 v[vgprValuC+72], v[vgprValuC+72]     // convert C to fp16
v_cvt_f16_f32 v[vgprValuC+73], v[vgprValuC+73]     // convert C to fp16
v_pack_b32_f16 v72, v[vgprValuC+72], v[vgprValuC+73] // Pack with neighbor
v_cvt_f16_f32 v[vgprValuC+74], v[vgprValuC+74]     // convert C to fp16
v_cvt_f16_f32 v[vgprValuC+75], v[vgprValuC+75]     // convert C to fp16
v_pack_b32_f16 v73, v[vgprValuC+74], v[vgprValuC+75] // Pack with neighbor
s_mul_i32 s34, s[sgprStrideD1J], 98                // scale StrideD *= numRows(49) * bpe
s_add_u32  s[sgprSrdD+0], s[sgprSrdD+0], s34       // incToNextRow: gra SRD += inc(lower)
s_addc_u32  s[sgprSrdD+1], s[sgprSrdD+1], 0        // incToNextRow: gra SRD += inc(upper)
_buffer_store_b64 v[72:73], v6, s[sgprSrdD:sgprSrdD+3], 0, offen, offset:0,  sc0 // store D
v_cvt_f16_f32 v[vgprValuC+76], v[vgprValuC+76]     // convert C to fp16
v_cvt_f16_f32 v[vgprValuC+77], v[vgprValuC+77]     // convert C to fp16
v_pack_b32_f16 v76, v[vgprValuC+76], v[vgprValuC+77] // Pack with neighbor
v_cvt_f16_f32 v[vgprValuC+78], v[vgprValuC+78]     // convert C to fp16
v_cvt_f16_f32 v[vgprValuC+79], v[vgprValuC+79]     // convert C to fp16
v_pack_b32_f16 v77, v[vgprValuC+78], v[vgprValuC+79] // Pack with neighbor
s_lshl_b32  s34, s[sgprStrideD1J], 1               // incToNextRow: Scale by BPE
s_add_u32  s[sgprSrdD+0], s[sgprSrdD+0], s34       // incToNextRow: gra SRD += inc(lower)
s_addc_u32  s[sgprSrdD+1], s[sgprSrdD+1], 0        // incToNextRow: gra SRD += inc(upper)
_buffer_store_b64 v[76:77], v6, s[sgprSrdD:sgprSrdD+3], 0, offen, offset:0,  sc0 // store D
v_cvt_f16_f32 v[vgprValuC+80], v[vgprValuC+80]     // convert C to fp16
v_cvt_f16_f32 v[vgprValuC+81], v[vgprValuC+81]     // convert C to fp16
v_pack_b32_f16 v80, v[vgprValuC+80], v[vgprValuC+81] // Pack with neighbor
v_cvt_f16_f32 v[vgprValuC+82], v[vgprValuC+82]     // convert C to fp16
v_cvt_f16_f32 v[vgprValuC+83], v[vgprValuC+83]     // convert C to fp16
v_pack_b32_f16 v81, v[vgprValuC+82], v[vgprValuC+83] // Pack with neighbor
s_lshl_b32  s34, s[sgprStrideD1J], 1               // incToNextRow: Scale by BPE
	;; [unrolled: 10-line block ×6, first 2 shown]
s_add_u32  s[sgprSrdD+0], s[sgprSrdD+0], s34       // incToNextRow: gra SRD += inc(lower)
s_addc_u32  s[sgprSrdD+1], s[sgprSrdD+1], 0        // incToNextRow: gra SRD += inc(upper)
_buffer_store_b64 v[96:97], v6, s[sgprSrdD:sgprSrdD+3], 0, offen, offset:0,  sc0 // store D
v_cvt_f16_f32 v[vgprValuC+100], v[vgprValuC+100]   // convert C to fp16
v_cvt_f16_f32 v[vgprValuC+101], v[vgprValuC+101]   // convert C to fp16
v_pack_b32_f16 v100, v[vgprValuC+100], v[vgprValuC+101] // Pack with neighbor
v_cvt_f16_f32 v[vgprValuC+102], v[vgprValuC+102]   // convert C to fp16
v_cvt_f16_f32 v[vgprValuC+103], v[vgprValuC+103]   // convert C to fp16
v_pack_b32_f16 v101, v[vgprValuC+102], v[vgprValuC+103] // Pack with neighbor
s_lshl_b32  s34, s[sgprStrideD1J], 1               // incToNextRow: Scale by BPE
s_add_u32  s[sgprSrdD+0], s[sgprSrdD+0], s34       // incToNextRow: gra SRD += inc(lower)
s_addc_u32  s[sgprSrdD+1], s[sgprSrdD+1], 0        // incToNextRow: gra SRD += inc(upper)
_buffer_store_b64 v[100:101], v6, s[sgprSrdD:sgprSrdD+3], 0, offen, offset:0,  sc0 // store D
v_cvt_f16_f32 v[vgprValuC+104], v[vgprValuC+104]   // convert C to fp16
v_cvt_f16_f32 v[vgprValuC+105], v[vgprValuC+105]   // convert C to fp16
v_pack_b32_f16 v104, v[vgprValuC+104], v[vgprValuC+105] // Pack with neighbor
v_cvt_f16_f32 v[vgprValuC+106], v[vgprValuC+106]   // convert C to fp16
v_cvt_f16_f32 v[vgprValuC+107], v[vgprValuC+107]   // convert C to fp16
v_pack_b32_f16 v105, v[vgprValuC+106], v[vgprValuC+107] // Pack with neighbor
s_lshl_b32  s34, s[sgprStrideD1J], 1               // incToNextRow: Scale by BPE
	;; [unrolled: 10-line block ×9, first 2 shown]
s_add_u32  s[sgprSrdD+0], s[sgprSrdD+0], s34       // incToNextRow: gra SRD += inc(lower)
s_addc_u32  s[sgprSrdD+1], s[sgprSrdD+1], 0        // incToNextRow: gra SRD += inc(upper)
_buffer_store_b64 v[132:133], v6, s[sgprSrdD:sgprSrdD+3], 0, offen, offset:0,  sc0 // store D
s_nop 0                                            // 1 wait state required when next inst writes vgprs held by previous dwordx4 store inst
s_branch label_GW_End_44                           // jump to end
GW_B0_E1_36:

/* edge=1, allocate 6 sgpr. perBatchTmpS=4 perBatchMaskS=2 perElementMaskS=0 elementsPerBatch=48 */
/* optSingleColVgpr=0 optSharedColVgpr=0 optSGPRUsage=BufferLoad_Edge_Mask optSrdIncForRow=0 */
s_sleep 3 // optimization: sync and wait
s_barrier

/******************************************/
/* Global Write Alpha Edge Batch #0 (d1,d0,vc1,vc0) = */
/*    (0,0,0,0:vw4); (0,0,1,0:vw4); (0,0,2,0:vw4); (0,0,3,0:vw4); (0,0,4,0:vw4); (0,0,5,0:vw4); (0,0,6,0:vw4); (0,0,7,0:vw4); (0,0,8,0:vw4); (0,0,9,0:vw4); (0,0,10,0:vw4); (0,0,11,0:vw4); (0,0,12,0:vw4); (0,0,13,0:vw4); (0,0,14,0:vw4); (0,0,15,0:vw4); (1,0,0,0:vw4); (1,0,1,0:vw4); (1,0,2,0:vw4); (1,0,3,0:vw4); (1,0,4,0:vw4); (1,0,5,0:vw4); (1,0,6,0:vw4); (1,0,7,0:vw4); (1,0,8,0:vw4); (1,0,9,0:vw4); (1,0,10,0:vw4); (1,0,11,0:vw4); (1,0,12,0:vw4); (1,0,13,0:vw4); (1,0,14,0:vw4); (1,0,15,0:vw4) */
/******************************************/

/* calc coords, apply mask, and issue loads (if necessary) */
/* (d1,vc1,d0,vc0)=(0,0,0,0) */
v_cmp_lt_u32 s[52:53], v0, s[sgprSizeI]            // coord0 < size0
v_cmp_lt_u32 s[56:57], v1, s[sgprSizeJ]            // coord1 < size1
s_and_b64 s[56:57], s[52:53], s[56:57]             // in0 && in1
_v_add_lshl_u32 v6, v3, v0, 0x1                    // scaleToBpe: accumulate d0 lower and *= bpe into Cin addr
v_cndmask_b32 v6, -1, v6, s[56:57]                 // LDD clip if OOB. offset
/* (d1,vc1,d0,vc0)=(0,1,0,0) */
_v_add_co_u32 v1, vcc, v1, 1                       // coord1.1: coord1Vgpr += d1*sg1*VW + vc1

/* Fix for UseInitialStridesCD, emitAddressSetupCode */
_v_add_u32 v2, v2, s[sgprStrideC1J]                // ROWINC- Move cinRowPtr to next row
_v_add_u32 v3, v3, s[sgprStrideD1J]                // Move coutRowPtr to next row
v_cmp_lt_u32 s[52:53], v0, s[sgprSizeI]            // coord0 < size0
v_cmp_lt_u32 s[56:57], v1, s[sgprSizeJ]            // coord1 < size1
s_and_b64 s[56:57], s[52:53], s[56:57]             // in0 && in1
_v_add_lshl_u32 v7, v3, v0, 0x1                    // scaleToBpe: accumulate d0 lower and *= bpe into Cin addr
v_cndmask_b32 v7, -1, v7, s[56:57]                 // LDD clip if OOB. offset
/* (d1,vc1,d0,vc0)=(0,2,0,0) */
_v_add_co_u32 v1, vcc, v1, 1                       // coord1.1: coord1Vgpr += d1*sg1*VW + vc1

/* Fix for UseInitialStridesCD, emitAddressSetupCode */
_v_add_u32 v2, v2, s[sgprStrideC1J]                // ROWINC- Move cinRowPtr to next row
_v_add_u32 v3, v3, s[sgprStrideD1J]                // Move coutRowPtr to next row
v_cmp_lt_u32 s[52:53], v0, s[sgprSizeI]            // coord0 < size0
v_cmp_lt_u32 s[56:57], v1, s[sgprSizeJ]            // coord1 < size1
s_and_b64 s[56:57], s[52:53], s[56:57]             // in0 && in1
_v_add_lshl_u32 v16, v3, v0, 0x1                   // scaleToBpe: accumulate d0 lower and *= bpe into Cin addr
v_cndmask_b32 v16, -1, v16, s[56:57]               // LDD clip if OOB. offset
/* (d1,vc1,d0,vc0)=(0,3,0,0) */
_v_add_co_u32 v1, vcc, v1, 1                       // coord1.1: coord1Vgpr += d1*sg1*VW + vc1

/* Fix for UseInitialStridesCD, emitAddressSetupCode */
_v_add_u32 v2, v2, s[sgprStrideC1J]                // ROWINC- Move cinRowPtr to next row
_v_add_u32 v3, v3, s[sgprStrideD1J]                // Move coutRowPtr to next row
v_cmp_lt_u32 s[52:53], v0, s[sgprSizeI]            // coord0 < size0
v_cmp_lt_u32 s[56:57], v1, s[sgprSizeJ]            // coord1 < size1
s_and_b64 s[56:57], s[52:53], s[56:57]             // in0 && in1
_v_add_lshl_u32 v17, v3, v0, 0x1                   // scaleToBpe: accumulate d0 lower and *= bpe into Cin addr
v_cndmask_b32 v17, -1, v17, s[56:57]               // LDD clip if OOB. offset
	;; [unrolled: 11-line block ×14, first 2 shown]
/* (d1,vc1,d0,vc0)=(1,0,0,0) */
_v_add_co_u32 v1, vcc, v1, 49                      // coord1.1: coord1Vgpr += d1*sg1*VW + vc1

/* Fix for UseInitialStridesCD, emitAddressSetupCode */
s_mul_i32 s52, s[sgprStrideC1J], 49                // scale stride
_v_add_u32 v2, v2, s52                             // ROWINC- Move cinRowPtr to next row
s_mul_i32 s52, s[sgprStrideD1J], 49                // scale stride
_v_add_u32 v3, v3, s52                             // Move coutRowPtr to next row
v_cmp_lt_u32 s[52:53], v0, s[sgprSizeI]            // coord0 < size0
v_cmp_lt_u32 s[56:57], v1, s[sgprSizeJ]            // coord1 < size1
s_and_b64 s[56:57], s[52:53], s[56:57]             // in0 && in1
_v_add_lshl_u32 v78, v3, v0, 0x1                   // scaleToBpe: accumulate d0 lower and *= bpe into Cin addr
v_cndmask_b32 v78, -1, v78, s[56:57]               // LDD clip if OOB. offset
/* (d1,vc1,d0,vc0)=(1,1,0,0) */
_v_add_co_u32 v1, vcc, v1, 1                       // coord1.1: coord1Vgpr += d1*sg1*VW + vc1

/* Fix for UseInitialStridesCD, emitAddressSetupCode */
_v_add_u32 v2, v2, s[sgprStrideC1J]                // ROWINC- Move cinRowPtr to next row
_v_add_u32 v3, v3, s[sgprStrideD1J]                // Move coutRowPtr to next row
v_cmp_lt_u32 s[52:53], v0, s[sgprSizeI]            // coord0 < size0
v_cmp_lt_u32 s[56:57], v1, s[sgprSizeJ]            // coord1 < size1
s_and_b64 s[56:57], s[52:53], s[56:57]             // in0 && in1
_v_add_lshl_u32 v79, v3, v0, 0x1                   // scaleToBpe: accumulate d0 lower and *= bpe into Cin addr
v_cndmask_b32 v79, -1, v79, s[56:57]               // LDD clip if OOB. offset
/* (d1,vc1,d0,vc0)=(1,2,0,0) */
_v_add_co_u32 v1, vcc, v1, 1                       // coord1.1: coord1Vgpr += d1*sg1*VW + vc1

/* Fix for UseInitialStridesCD, emitAddressSetupCode */
_v_add_u32 v2, v2, s[sgprStrideC1J]                // ROWINC- Move cinRowPtr to next row
_v_add_u32 v3, v3, s[sgprStrideD1J]                // Move coutRowPtr to next row
	;; [unrolled: 11-line block ×6, first 2 shown]
v_cmp_lt_u32 s[52:53], v0, s[sgprSizeI]            // coord0 < size0
v_cmp_lt_u32 s[56:57], v1, s[sgprSizeJ]            // coord1 < size1
s_and_b64 s[56:57], s[52:53], s[56:57]             // in0 && in1
_v_add_lshl_u32 v116, v3, v0, 0x1                  // scaleToBpe: accumulate d0 lower and *= bpe into Cin addr
v_cndmask_b32 v116, -1, v116, s[56:57]             // LDD clip if OOB. offset
/* (d1,vc1,d0,vc0)=(1,7,0,0) */
_v_add_co_u32 v1, vcc, v1, 1                       // coord1.1: coord1Vgpr += d1*sg1*VW + vc1

/* Fix for UseInitialStridesCD, emitAddressSetupCode */
_v_add_u32 v2, v2, s[sgprStrideC1J]                // ROWINC- Move cinRowPtr to next row
_v_add_u32 v3, v3, s[sgprStrideD1J]                // Move coutRowPtr to next row
v_cmp_lt_u32 s[52:53], v0, s[sgprSizeI]            // coord0 < size0
v_cmp_lt_u32 s[56:57], v1, s[sgprSizeJ]            // coord1 < size1
s_and_b64 s[56:57], s[52:53], s[56:57]             // in0 && in1
_v_add_lshl_u32 v117, v3, v0, 0x1                  // scaleToBpe: accumulate d0 lower and *= bpe into Cin addr
v_cndmask_b32 v117, -1, v117, s[56:57]             // LDD clip if OOB. offset
/* (d1,vc1,d0,vc0)=(1,8,0,0) */
_v_add_co_u32 v1, vcc, v1, 1                       // coord1.1: coord1Vgpr += d1*sg1*VW + vc1

/* Fix for UseInitialStridesCD, emitAddressSetupCode */
_v_add_u32 v2, v2, s[sgprStrideC1J]                // ROWINC- Move cinRowPtr to next row
_v_add_u32 v3, v3, s[sgprStrideD1J]                // Move coutRowPtr to next row
	;; [unrolled: 11-line block ×9, first 2 shown]
v_cmp_lt_u32 s[52:53], v0, s[sgprSizeI]            // coord0 < size0
v_cmp_lt_u32 s[56:57], v1, s[sgprSizeJ]            // coord1 < size1
s_and_b64 s[56:57], s[52:53], s[56:57]             // in0 && in1
_v_add_lshl_u32 v157, v3, v0, 0x1                  // scaleToBpe: accumulate d0 lower and *= bpe into Cin addr
v_cndmask_b32 v157, -1, v157, s[56:57]             // LDD clip if OOB. offset
v_accvgpr_read_b32 v[vgprValuC+8], acc0 // copy acc to vreg[0]
v_accvgpr_read_b32 v[vgprValuC+9], acc4 // copy acc to vreg[1]
v_accvgpr_read_b32 v[vgprValuC+10], acc8 // copy acc to vreg[2]
v_accvgpr_read_b32 v[vgprValuC+11], acc12 // copy acc to vreg[3]
v_accvgpr_read_b32 v[vgprValuC+12], acc16 // copy acc to vreg[4]
v_accvgpr_read_b32 v[vgprValuC+13], acc20 // copy acc to vreg[5]
v_accvgpr_read_b32 v[vgprValuC+14], acc24 // copy acc to vreg[6]
v_accvgpr_read_b32 v[vgprValuC+15], acc28 // copy acc to vreg[7]
v_accvgpr_read_b32 v[vgprValuC+20], acc32 // copy acc to vreg[8]
v_accvgpr_read_b32 v[vgprValuC+21], acc36 // copy acc to vreg[9]
v_accvgpr_read_b32 v[vgprValuC+22], acc40 // copy acc to vreg[10]
v_accvgpr_read_b32 v[vgprValuC+23], acc44 // copy acc to vreg[11]
v_accvgpr_read_b32 v[vgprValuC+24], acc48 // copy acc to vreg[12]
v_accvgpr_read_b32 v[vgprValuC+25], acc52 // copy acc to vreg[13]
v_accvgpr_read_b32 v[vgprValuC+26], acc56 // copy acc to vreg[14]
v_accvgpr_read_b32 v[vgprValuC+27], acc60 // copy acc to vreg[15]
v_accvgpr_read_b32 v[vgprValuC+28], acc1 // copy acc to vreg[16]
v_accvgpr_read_b32 v[vgprValuC+29], acc5 // copy acc to vreg[17]
v_accvgpr_read_b32 v[vgprValuC+30], acc9 // copy acc to vreg[18]
v_accvgpr_read_b32 v[vgprValuC+31], acc13 // copy acc to vreg[19]
v_accvgpr_read_b32 v[vgprValuC+32], acc17 // copy acc to vreg[20]
v_accvgpr_read_b32 v[vgprValuC+33], acc21 // copy acc to vreg[21]
v_accvgpr_read_b32 v[vgprValuC+34], acc25 // copy acc to vreg[22]
v_accvgpr_read_b32 v[vgprValuC+35], acc29 // copy acc to vreg[23]
v_accvgpr_read_b32 v[vgprValuC+40], acc33 // copy acc to vreg[24]
v_accvgpr_read_b32 v[vgprValuC+41], acc37 // copy acc to vreg[25]
v_accvgpr_read_b32 v[vgprValuC+42], acc41 // copy acc to vreg[26]
v_accvgpr_read_b32 v[vgprValuC+43], acc45 // copy acc to vreg[27]
v_accvgpr_read_b32 v[vgprValuC+44], acc49 // copy acc to vreg[28]
v_accvgpr_read_b32 v[vgprValuC+45], acc53 // copy acc to vreg[29]
v_accvgpr_read_b32 v[vgprValuC+46], acc57 // copy acc to vreg[30]
v_accvgpr_read_b32 v[vgprValuC+47], acc61 // copy acc to vreg[31]
v_accvgpr_read_b32 v[vgprValuC+48], acc2 // copy acc to vreg[32]
v_accvgpr_read_b32 v[vgprValuC+49], acc6 // copy acc to vreg[33]
v_accvgpr_read_b32 v[vgprValuC+50], acc10 // copy acc to vreg[34]
v_accvgpr_read_b32 v[vgprValuC+51], acc14 // copy acc to vreg[35]
v_accvgpr_read_b32 v[vgprValuC+52], acc18 // copy acc to vreg[36]
v_accvgpr_read_b32 v[vgprValuC+53], acc22 // copy acc to vreg[37]
v_accvgpr_read_b32 v[vgprValuC+54], acc26 // copy acc to vreg[38]
v_accvgpr_read_b32 v[vgprValuC+55], acc30 // copy acc to vreg[39]
v_accvgpr_read_b32 v[vgprValuC+60], acc34 // copy acc to vreg[40]
v_accvgpr_read_b32 v[vgprValuC+61], acc38 // copy acc to vreg[41]
v_accvgpr_read_b32 v[vgprValuC+62], acc42 // copy acc to vreg[42]
v_accvgpr_read_b32 v[vgprValuC+63], acc46 // copy acc to vreg[43]
v_accvgpr_read_b32 v[vgprValuC+64], acc50 // copy acc to vreg[44]
v_accvgpr_read_b32 v[vgprValuC+65], acc54 // copy acc to vreg[45]
v_accvgpr_read_b32 v[vgprValuC+66], acc58 // copy acc to vreg[46]
v_accvgpr_read_b32 v[vgprValuC+67], acc62 // copy acc to vreg[47]
v_accvgpr_read_b32 v[vgprValuC+68], acc3 // copy acc to vreg[48]
v_accvgpr_read_b32 v[vgprValuC+69], acc7 // copy acc to vreg[49]
v_accvgpr_read_b32 v[vgprValuC+70], acc11 // copy acc to vreg[50]
v_accvgpr_read_b32 v[vgprValuC+71], acc15 // copy acc to vreg[51]
v_accvgpr_read_b32 v[vgprValuC+72], acc19 // copy acc to vreg[52]
v_accvgpr_read_b32 v[vgprValuC+73], acc23 // copy acc to vreg[53]
v_accvgpr_read_b32 v[vgprValuC+74], acc27 // copy acc to vreg[54]
v_accvgpr_read_b32 v[vgprValuC+75], acc31 // copy acc to vreg[55]
v_accvgpr_read_b32 v[vgprValuC+80], acc35 // copy acc to vreg[56]
v_accvgpr_read_b32 v[vgprValuC+81], acc39 // copy acc to vreg[57]
v_accvgpr_read_b32 v[vgprValuC+82], acc43 // copy acc to vreg[58]
v_accvgpr_read_b32 v[vgprValuC+83], acc47 // copy acc to vreg[59]
v_accvgpr_read_b32 v[vgprValuC+84], acc51 // copy acc to vreg[60]
v_accvgpr_read_b32 v[vgprValuC+85], acc55 // copy acc to vreg[61]
v_accvgpr_read_b32 v[vgprValuC+86], acc59 // copy acc to vreg[62]
v_accvgpr_read_b32 v[vgprValuC+87], acc63 // copy acc to vreg[63]
v_accvgpr_read_b32 v[vgprValuC+88], acc64 // copy acc to vreg[64]
v_accvgpr_read_b32 v[vgprValuC+89], acc68 // copy acc to vreg[65]
v_accvgpr_read_b32 v[vgprValuC+90], acc72 // copy acc to vreg[66]
v_accvgpr_read_b32 v[vgprValuC+91], acc76 // copy acc to vreg[67]
v_accvgpr_read_b32 v[vgprValuC+92], acc80 // copy acc to vreg[68]
v_accvgpr_read_b32 v[vgprValuC+93], acc84 // copy acc to vreg[69]
v_accvgpr_read_b32 v[vgprValuC+94], acc88 // copy acc to vreg[70]
v_accvgpr_read_b32 v[vgprValuC+95], acc92 // copy acc to vreg[71]
v_accvgpr_read_b32 v[vgprValuC+100], acc96 // copy acc to vreg[72]
v_accvgpr_read_b32 v[vgprValuC+101], acc100 // copy acc to vreg[73]
v_accvgpr_read_b32 v[vgprValuC+102], acc104 // copy acc to vreg[74]
v_accvgpr_read_b32 v[vgprValuC+103], acc108 // copy acc to vreg[75]
v_accvgpr_read_b32 v[vgprValuC+104], acc112 // copy acc to vreg[76]
v_accvgpr_read_b32 v[vgprValuC+105], acc116 // copy acc to vreg[77]
v_accvgpr_read_b32 v[vgprValuC+106], acc120 // copy acc to vreg[78]
v_accvgpr_read_b32 v[vgprValuC+107], acc124 // copy acc to vreg[79]
v_accvgpr_read_b32 v[vgprValuC+108], acc65 // copy acc to vreg[80]
v_accvgpr_read_b32 v[vgprValuC+109], acc69 // copy acc to vreg[81]
v_accvgpr_read_b32 v[vgprValuC+110], acc73 // copy acc to vreg[82]
v_accvgpr_read_b32 v[vgprValuC+111], acc77 // copy acc to vreg[83]
v_accvgpr_read_b32 v[vgprValuC+112], acc81 // copy acc to vreg[84]
v_accvgpr_read_b32 v[vgprValuC+113], acc85 // copy acc to vreg[85]
v_accvgpr_read_b32 v[vgprValuC+114], acc89 // copy acc to vreg[86]
v_accvgpr_read_b32 v[vgprValuC+115], acc93 // copy acc to vreg[87]
v_accvgpr_read_b32 v[vgprValuC+120], acc97 // copy acc to vreg[88]
v_accvgpr_read_b32 v[vgprValuC+121], acc101 // copy acc to vreg[89]
v_accvgpr_read_b32 v[vgprValuC+122], acc105 // copy acc to vreg[90]
v_accvgpr_read_b32 v[vgprValuC+123], acc109 // copy acc to vreg[91]
v_accvgpr_read_b32 v[vgprValuC+124], acc113 // copy acc to vreg[92]
v_accvgpr_read_b32 v[vgprValuC+125], acc117 // copy acc to vreg[93]
v_accvgpr_read_b32 v[vgprValuC+126], acc121 // copy acc to vreg[94]
v_accvgpr_read_b32 v[vgprValuC+127], acc125 // copy acc to vreg[95]
v_accvgpr_read_b32 v[vgprValuC+128], acc66 // copy acc to vreg[96]
v_accvgpr_read_b32 v[vgprValuC+129], acc70 // copy acc to vreg[97]
v_accvgpr_read_b32 v[vgprValuC+130], acc74 // copy acc to vreg[98]
v_accvgpr_read_b32 v[vgprValuC+131], acc78 // copy acc to vreg[99]
v_accvgpr_read_b32 v[vgprValuC+132], acc82 // copy acc to vreg[100]
v_accvgpr_read_b32 v[vgprValuC+133], acc86 // copy acc to vreg[101]
v_accvgpr_read_b32 v[vgprValuC+134], acc90 // copy acc to vreg[102]
v_accvgpr_read_b32 v[vgprValuC+135], acc94 // copy acc to vreg[103]
v_accvgpr_read_b32 v[vgprValuC+140], acc98 // copy acc to vreg[104]
v_accvgpr_read_b32 v[vgprValuC+141], acc102 // copy acc to vreg[105]
v_accvgpr_read_b32 v[vgprValuC+142], acc106 // copy acc to vreg[106]
v_accvgpr_read_b32 v[vgprValuC+143], acc110 // copy acc to vreg[107]
v_accvgpr_read_b32 v[vgprValuC+144], acc114 // copy acc to vreg[108]
v_accvgpr_read_b32 v[vgprValuC+145], acc118 // copy acc to vreg[109]
v_accvgpr_read_b32 v[vgprValuC+146], acc122 // copy acc to vreg[110]
v_accvgpr_read_b32 v[vgprValuC+147], acc126 // copy acc to vreg[111]
v_accvgpr_read_b32 v[vgprValuC+148], acc67 // copy acc to vreg[112]
v_accvgpr_read_b32 v[vgprValuC+149], acc71 // copy acc to vreg[113]
v_accvgpr_read_b32 v[vgprValuC+150], acc75 // copy acc to vreg[114]
v_accvgpr_read_b32 v[vgprValuC+151], acc79 // copy acc to vreg[115]
v_accvgpr_read_b32 v[vgprValuC+152], acc83 // copy acc to vreg[116]
v_accvgpr_read_b32 v[vgprValuC+153], acc87 // copy acc to vreg[117]
v_accvgpr_read_b32 v[vgprValuC+154], acc91 // copy acc to vreg[118]
v_accvgpr_read_b32 v[vgprValuC+155], acc95 // copy acc to vreg[119]
v_accvgpr_read_b32 v[vgprValuC+160], acc99 // copy acc to vreg[120]
v_accvgpr_read_b32 v[vgprValuC+161], acc103 // copy acc to vreg[121]
v_accvgpr_read_b32 v[vgprValuC+162], acc107 // copy acc to vreg[122]
v_accvgpr_read_b32 v[vgprValuC+163], acc111 // copy acc to vreg[123]
v_accvgpr_read_b32 v[vgprValuC+164], acc115 // copy acc to vreg[124]
v_accvgpr_read_b32 v[vgprValuC+165], acc119 // copy acc to vreg[125]
v_accvgpr_read_b32 v[vgprValuC+166], acc123 // copy acc to vreg[126]
v_accvgpr_read_b32 v[vgprValuC+167], acc127 // copy acc to vreg[127]
s_nop 1                                            // 2 wait states required before reading vgpr

/* rC *= alpha batchElements=[(0, 0, 0, 0), (0, 0, 1, 0), (0, 0, 2, 0), (0, 0, 3, 0), (0, 0, 4, 0), (0, 0, 5, 0), (0, 0, 6, 0), (0, 0, 7, 0), (0, 0, 8, 0), (0, 0, 9, 0), (0, 0, 10, 0), (0, 0, 11, 0), (0, 0, 12, 0), (0, 0, 13, 0), (0, 0, 14, 0), (0, 0, 15, 0), (1, 0, 0, 0), (1, 0, 1, 0), (1, 0, 2, 0), (1, 0, 3, 0), (1, 0, 4, 0), (1, 0, 5, 0), (1, 0, 6, 0), (1, 0, 7, 0), (1, 0, 8, 0), (1, 0, 9, 0), (1, 0, 10, 0), (1, 0, 11, 0), (1, 0, 12, 0), (1, 0, 13, 0), (1, 0, 14, 0), (1, 0, 15, 0)] */
v_mul_f32 v[vgprValuC+8], s[sgprAlpha], v[vgprValuC+8] // *= alpha
v_mul_f32 v[vgprValuC+9], s[sgprAlpha], v[vgprValuC+9] // *= alpha
	;; [unrolled: 1-line block ×128, first 2 shown]

/* apply mask, calc new C and issue writes */
v_cvt_f16_f32 v[vgprValuC+8], v[vgprValuC+8]       // convert C to fp16
v_cvt_f16_f32 v[vgprValuC+9], v[vgprValuC+9]       // convert C to fp16
v_pack_b32_f16 v8, v[vgprValuC+8], v[vgprValuC+9]  // Pack with neighbor
v_cvt_f16_f32 v[vgprValuC+10], v[vgprValuC+10]     // convert C to fp16
v_cvt_f16_f32 v[vgprValuC+11], v[vgprValuC+11]     // convert C to fp16
v_pack_b32_f16 v9, v[vgprValuC+10], v[vgprValuC+11] // Pack with neighbor
_buffer_store_b64 v[8:9], v6, s[sgprSrdD:sgprSrdD+3], 0, offen, offset:0,  sc0 // store D
v_cvt_f16_f32 v[vgprValuC+12], v[vgprValuC+12]     // convert C to fp16
v_cvt_f16_f32 v[vgprValuC+13], v[vgprValuC+13]     // convert C to fp16
v_pack_b32_f16 v12, v[vgprValuC+12], v[vgprValuC+13] // Pack with neighbor
v_cvt_f16_f32 v[vgprValuC+14], v[vgprValuC+14]     // convert C to fp16
v_cvt_f16_f32 v[vgprValuC+15], v[vgprValuC+15]     // convert C to fp16
v_pack_b32_f16 v13, v[vgprValuC+14], v[vgprValuC+15] // Pack with neighbor
_buffer_store_b64 v[12:13], v7, s[sgprSrdD:sgprSrdD+3], 0, offen, offset:0,  sc0 // store D
v_cvt_f16_f32 v[vgprValuC+20], v[vgprValuC+20]     // convert C to fp16
v_cvt_f16_f32 v[vgprValuC+21], v[vgprValuC+21]     // convert C to fp16
v_pack_b32_f16 v20, v[vgprValuC+20], v[vgprValuC+21] // Pack with neighbor
	;; [unrolled: 7-line block ×17, first 2 shown]
v_cvt_f16_f32 v[vgprValuC+94], v[vgprValuC+94]     // convert C to fp16
v_cvt_f16_f32 v[vgprValuC+95], v[vgprValuC+95]     // convert C to fp16
v_pack_b32_f16 v93, v[vgprValuC+94], v[vgprValuC+95] // Pack with neighbor
_buffer_store_b64 v[92:93], v79, s[sgprSrdD:sgprSrdD+3], 0, offen, offset:0,  sc0 // store D
v_cvt_f16_f32 v[vgprValuC+100], v[vgprValuC+100]   // convert C to fp16
v_cvt_f16_f32 v[vgprValuC+101], v[vgprValuC+101]   // convert C to fp16
v_pack_b32_f16 v100, v[vgprValuC+100], v[vgprValuC+101] // Pack with neighbor
v_cvt_f16_f32 v[vgprValuC+102], v[vgprValuC+102]   // convert C to fp16
v_cvt_f16_f32 v[vgprValuC+103], v[vgprValuC+103]   // convert C to fp16
v_pack_b32_f16 v101, v[vgprValuC+102], v[vgprValuC+103] // Pack with neighbor
_buffer_store_b64 v[100:101], v96, s[sgprSrdD:sgprSrdD+3], 0, offen, offset:0,  sc0 // store D
v_cvt_f16_f32 v[vgprValuC+104], v[vgprValuC+104]   // convert C to fp16
v_cvt_f16_f32 v[vgprValuC+105], v[vgprValuC+105]   // convert C to fp16
v_pack_b32_f16 v104, v[vgprValuC+104], v[vgprValuC+105] // Pack with neighbor
v_cvt_f16_f32 v[vgprValuC+106], v[vgprValuC+106]   // convert C to fp16
v_cvt_f16_f32 v[vgprValuC+107], v[vgprValuC+107]   // convert C to fp16
v_pack_b32_f16 v105, v[vgprValuC+106], v[vgprValuC+107] // Pack with neighbor
_buffer_store_b64 v[104:105], v97, s[sgprSrdD:sgprSrdD+3], 0, offen, offset:0,  sc0 // store D
v_cvt_f16_f32 v[vgprValuC+108], v[vgprValuC+108]   // convert C to fp16
v_cvt_f16_f32 v[vgprValuC+109], v[vgprValuC+109]   // convert C to fp16
v_pack_b32_f16 v108, v[vgprValuC+108], v[vgprValuC+109] // Pack with neighbor
v_cvt_f16_f32 v[vgprValuC+110], v[vgprValuC+110]   // convert C to fp16
v_cvt_f16_f32 v[vgprValuC+111], v[vgprValuC+111]   // convert C to fp16
v_pack_b32_f16 v109, v[vgprValuC+110], v[vgprValuC+111] // Pack with neighbor
_buffer_store_b64 v[108:109], v98, s[sgprSrdD:sgprSrdD+3], 0, offen, offset:0,  sc0 // store D
v_cvt_f16_f32 v[vgprValuC+112], v[vgprValuC+112]   // convert C to fp16
v_cvt_f16_f32 v[vgprValuC+113], v[vgprValuC+113]   // convert C to fp16
v_pack_b32_f16 v112, v[vgprValuC+112], v[vgprValuC+113] // Pack with neighbor
v_cvt_f16_f32 v[vgprValuC+114], v[vgprValuC+114]   // convert C to fp16
v_cvt_f16_f32 v[vgprValuC+115], v[vgprValuC+115]   // convert C to fp16
v_pack_b32_f16 v113, v[vgprValuC+114], v[vgprValuC+115] // Pack with neighbor
_buffer_store_b64 v[112:113], v99, s[sgprSrdD:sgprSrdD+3], 0, offen, offset:0,  sc0 // store D
v_cvt_f16_f32 v[vgprValuC+120], v[vgprValuC+120]   // convert C to fp16
v_cvt_f16_f32 v[vgprValuC+121], v[vgprValuC+121]   // convert C to fp16
v_pack_b32_f16 v120, v[vgprValuC+120], v[vgprValuC+121] // Pack with neighbor
v_cvt_f16_f32 v[vgprValuC+122], v[vgprValuC+122]   // convert C to fp16
v_cvt_f16_f32 v[vgprValuC+123], v[vgprValuC+123]   // convert C to fp16
v_pack_b32_f16 v121, v[vgprValuC+122], v[vgprValuC+123] // Pack with neighbor
_buffer_store_b64 v[120:121], v116, s[sgprSrdD:sgprSrdD+3], 0, offen, offset:0,  sc0 // store D
v_cvt_f16_f32 v[vgprValuC+124], v[vgprValuC+124]   // convert C to fp16
v_cvt_f16_f32 v[vgprValuC+125], v[vgprValuC+125]   // convert C to fp16
v_pack_b32_f16 v124, v[vgprValuC+124], v[vgprValuC+125] // Pack with neighbor
v_cvt_f16_f32 v[vgprValuC+126], v[vgprValuC+126]   // convert C to fp16
v_cvt_f16_f32 v[vgprValuC+127], v[vgprValuC+127]   // convert C to fp16
v_pack_b32_f16 v125, v[vgprValuC+126], v[vgprValuC+127] // Pack with neighbor
_buffer_store_b64 v[124:125], v117, s[sgprSrdD:sgprSrdD+3], 0, offen, offset:0,  sc0 // store D
v_cvt_f16_f32 v[vgprValuC+128], v[vgprValuC+128]   // convert C to fp16
v_cvt_f16_f32 v[vgprValuC+129], v[vgprValuC+129]   // convert C to fp16
v_pack_b32_f16 v128, v[vgprValuC+128], v[vgprValuC+129] // Pack with neighbor
v_cvt_f16_f32 v[vgprValuC+130], v[vgprValuC+130]   // convert C to fp16
v_cvt_f16_f32 v[vgprValuC+131], v[vgprValuC+131]   // convert C to fp16
v_pack_b32_f16 v129, v[vgprValuC+130], v[vgprValuC+131] // Pack with neighbor
_buffer_store_b64 v[128:129], v118, s[sgprSrdD:sgprSrdD+3], 0, offen, offset:0,  sc0 // store D
v_cvt_f16_f32 v[vgprValuC+132], v[vgprValuC+132]   // convert C to fp16
v_cvt_f16_f32 v[vgprValuC+133], v[vgprValuC+133]   // convert C to fp16
v_pack_b32_f16 v132, v[vgprValuC+132], v[vgprValuC+133] // Pack with neighbor
v_cvt_f16_f32 v[vgprValuC+134], v[vgprValuC+134]   // convert C to fp16
v_cvt_f16_f32 v[vgprValuC+135], v[vgprValuC+135]   // convert C to fp16
v_pack_b32_f16 v133, v[vgprValuC+134], v[vgprValuC+135] // Pack with neighbor
_buffer_store_b64 v[132:133], v119, s[sgprSrdD:sgprSrdD+3], 0, offen, offset:0,  sc0 // store D
v_cvt_f16_f32 v[vgprValuC+140], v[vgprValuC+140]   // convert C to fp16
v_cvt_f16_f32 v[vgprValuC+141], v[vgprValuC+141]   // convert C to fp16
v_pack_b32_f16 v140, v[vgprValuC+140], v[vgprValuC+141] // Pack with neighbor
v_cvt_f16_f32 v[vgprValuC+142], v[vgprValuC+142]   // convert C to fp16
v_cvt_f16_f32 v[vgprValuC+143], v[vgprValuC+143]   // convert C to fp16
v_pack_b32_f16 v141, v[vgprValuC+142], v[vgprValuC+143] // Pack with neighbor
_buffer_store_b64 v[140:141], v136, s[sgprSrdD:sgprSrdD+3], 0, offen, offset:0,  sc0 // store D
v_cvt_f16_f32 v[vgprValuC+144], v[vgprValuC+144]   // convert C to fp16
v_cvt_f16_f32 v[vgprValuC+145], v[vgprValuC+145]   // convert C to fp16
v_pack_b32_f16 v144, v[vgprValuC+144], v[vgprValuC+145] // Pack with neighbor
v_cvt_f16_f32 v[vgprValuC+146], v[vgprValuC+146]   // convert C to fp16
v_cvt_f16_f32 v[vgprValuC+147], v[vgprValuC+147]   // convert C to fp16
v_pack_b32_f16 v145, v[vgprValuC+146], v[vgprValuC+147] // Pack with neighbor
_buffer_store_b64 v[144:145], v137, s[sgprSrdD:sgprSrdD+3], 0, offen, offset:0,  sc0 // store D
v_cvt_f16_f32 v[vgprValuC+148], v[vgprValuC+148]   // convert C to fp16
v_cvt_f16_f32 v[vgprValuC+149], v[vgprValuC+149]   // convert C to fp16
v_pack_b32_f16 v148, v[vgprValuC+148], v[vgprValuC+149] // Pack with neighbor
v_cvt_f16_f32 v[vgprValuC+150], v[vgprValuC+150]   // convert C to fp16
v_cvt_f16_f32 v[vgprValuC+151], v[vgprValuC+151]   // convert C to fp16
v_pack_b32_f16 v149, v[vgprValuC+150], v[vgprValuC+151] // Pack with neighbor
_buffer_store_b64 v[148:149], v138, s[sgprSrdD:sgprSrdD+3], 0, offen, offset:0,  sc0 // store D
v_cvt_f16_f32 v[vgprValuC+152], v[vgprValuC+152]   // convert C to fp16
v_cvt_f16_f32 v[vgprValuC+153], v[vgprValuC+153]   // convert C to fp16
v_pack_b32_f16 v152, v[vgprValuC+152], v[vgprValuC+153] // Pack with neighbor
v_cvt_f16_f32 v[vgprValuC+154], v[vgprValuC+154]   // convert C to fp16
v_cvt_f16_f32 v[vgprValuC+155], v[vgprValuC+155]   // convert C to fp16
v_pack_b32_f16 v153, v[vgprValuC+154], v[vgprValuC+155] // Pack with neighbor
_buffer_store_b64 v[152:153], v139, s[sgprSrdD:sgprSrdD+3], 0, offen, offset:0,  sc0 // store D
v_cvt_f16_f32 v[vgprValuC+160], v[vgprValuC+160]   // convert C to fp16
v_cvt_f16_f32 v[vgprValuC+161], v[vgprValuC+161]   // convert C to fp16
v_pack_b32_f16 v160, v[vgprValuC+160], v[vgprValuC+161] // Pack with neighbor
v_cvt_f16_f32 v[vgprValuC+162], v[vgprValuC+162]   // convert C to fp16
v_cvt_f16_f32 v[vgprValuC+163], v[vgprValuC+163]   // convert C to fp16
v_pack_b32_f16 v161, v[vgprValuC+162], v[vgprValuC+163] // Pack with neighbor
_buffer_store_b64 v[160:161], v156, s[sgprSrdD:sgprSrdD+3], 0, offen, offset:0,  sc0 // store D
v_cvt_f16_f32 v[vgprValuC+164], v[vgprValuC+164]   // convert C to fp16
v_cvt_f16_f32 v[vgprValuC+165], v[vgprValuC+165]   // convert C to fp16
v_pack_b32_f16 v164, v[vgprValuC+164], v[vgprValuC+165] // Pack with neighbor
v_cvt_f16_f32 v[vgprValuC+166], v[vgprValuC+166]   // convert C to fp16
v_cvt_f16_f32 v[vgprValuC+167], v[vgprValuC+167]   // convert C to fp16
v_pack_b32_f16 v165, v[vgprValuC+166], v[vgprValuC+167] // Pack with neighbor
_buffer_store_b64 v[164:165], v157, s[sgprSrdD:sgprSrdD+3], 0, offen, offset:0,  sc0 // store D
s_nop 0                                            // 1 wait state required when next inst writes vgprs held by previous dwordx4 store inst
s_branch label_GW_End_44                           // jump to end
GW_Beta_45:
s_and_b32 s52, 255, s[sgprSizeI]                   // s52 = s[sgprSizeI] % 256
s_add_u32 s53, -0x1, s[sgprNumWorkGroups0]         // 
s_cmp_ge_u32 s[sgprWorkGroup0], s53                // wg0 >= nwg0-1 ?
s_cselect_b32 s52, s52, 0                          // set rMT0
s_cmpk_gt_u32 s52, 0x0                             // rMT0 > 0
s_cbranch_scc1 GW_B1_E1_43                         // jump if edges required
s_and_b32 s52, 127, s[sgprSizeJ]                   // s52 = s[sgprSizeJ] % 128
s_add_u32 s53, -0x1, s[sgprNumWorkGroups1]         // 
s_cmp_ge_u32 s[sgprWorkGroup1], s53                // wg1 >= nwg1-1
s_cselect_b32 s52, s52, 0                          // set rMT1
s_cmpk_gt_u32 s52, 0x0                             // rMT1 > 0
s_cbranch_scc1 GW_B1_E1_43                         // jump if edges required
GW_B1_E0_40:

/* edge=0, allocate 2 sgpr. perBatchTmpS=2 perBatchMaskS=0 perElementMaskS=0 elementsPerBatch=40 */
/* optSingleColVgpr=1 optSharedColVgpr=0 optSGPRUsage=BufferLoad_Mask optSrdIncForRow=1 */
s_sleep 3 // optimization: sync and wait
s_barrier

/******************************************/
/* Global Write Alpha Beta Batch #0 (d1,d0,vc1,vc0) = */
/*    (0,0,0,0:vw4); (0,0,1,0:vw4); (0,0,2,0:vw4); (0,0,3,0:vw4); (0,0,4,0:vw4); (0,0,5,0:vw4); (0,0,6,0:vw4); (0,0,7,0:vw4); (0,0,8,0:vw4); (0,0,9,0:vw4); (0,0,10,0:vw4); (0,0,11,0:vw4); (0,0,12,0:vw4); (0,0,13,0:vw4); (0,0,14,0:vw4); (0,0,15,0:vw4); (1,0,0,0:vw4); (1,0,1,0:vw4); (1,0,2,0:vw4); (1,0,3,0:vw4); (1,0,4,0:vw4); (1,0,5,0:vw4); (1,0,6,0:vw4); (1,0,7,0:vw4); (1,0,8,0:vw4); (1,0,9,0:vw4); (1,0,10,0:vw4); (1,0,11,0:vw4); (1,0,12,0:vw4); (1,0,13,0:vw4); (1,0,14,0:vw4); (1,0,15,0:vw4) */
/******************************************/

/* calc coords, apply mask, and issue loads (if necessary) */
/* (d1,vc1,d0,vc0)=(0,0,0,0) */
_v_add_lshl_u32 v7, v2, v0, 0x1                    // optSingleColVgpr scaleToBpe: sharedAddrVgpr <- cinRowPtr + coord0, scaled by BPE. BSHERE:coord0=0, coord0Vgpr=0
_buffer_load_b64 v[8:9], v7, s[sgprSrdC:sgprSrdC+3], 0, offen offset:0,  sc0 // load C for beta calc
/* (d1,vc1,d0,vc0)=(0,1,0,0) */
s_lshl_b32  s34, s[sgprStrideC1J], 1               // incToNextRow: Scale by BPE
s_add_u32  s[sgprSrdC+0], s[sgprSrdC+0], s34       // incToNextRow: gra SRD += inc(lower)
s_addc_u32  s[sgprSrdC+1], s[sgprSrdC+1], 0        // incToNextRow: gra SRD += inc(upper)
_buffer_load_b64 v[10:11], v7, s[sgprSrdC:sgprSrdC+3], 0, offen offset:0,  sc0 // load C for beta calc
/* (d1,vc1,d0,vc0)=(0,2,0,0) */
s_lshl_b32  s34, s[sgprStrideC1J], 1               // incToNextRow: Scale by BPE
s_add_u32  s[sgprSrdC+0], s[sgprSrdC+0], s34       // incToNextRow: gra SRD += inc(lower)
s_addc_u32  s[sgprSrdC+1], s[sgprSrdC+1], 0        // incToNextRow: gra SRD += inc(upper)
	;; [unrolled: 5-line block ×15, first 2 shown]
_buffer_load_b64 v[94:95], v7, s[sgprSrdC:sgprSrdC+3], 0, offen offset:0,  sc0 // load C for beta calc
/* (d1,vc1,d0,vc0)=(1,0,0,0) */
s_mul_i32 s34, s[sgprStrideC1J], 98                // scale StrideC *= numRows(49) * bpe
s_add_u32  s[sgprSrdC+0], s[sgprSrdC+0], s34       // incToNextRow: gra SRD += inc(lower)
s_addc_u32  s[sgprSrdC+1], s[sgprSrdC+1], 0        // incToNextRow: gra SRD += inc(upper)
_buffer_load_b64 v[104:105], v7, s[sgprSrdC:sgprSrdC+3], 0, offen offset:0,  sc0 // load C for beta calc
/* (d1,vc1,d0,vc0)=(1,1,0,0) */
s_lshl_b32  s34, s[sgprStrideC1J], 1               // incToNextRow: Scale by BPE
s_add_u32  s[sgprSrdC+0], s[sgprSrdC+0], s34       // incToNextRow: gra SRD += inc(lower)
s_addc_u32  s[sgprSrdC+1], s[sgprSrdC+1], 0        // incToNextRow: gra SRD += inc(upper)
_buffer_load_b64 v[106:107], v7, s[sgprSrdC:sgprSrdC+3], 0, offen offset:0,  sc0 // load C for beta calc
/* (d1,vc1,d0,vc0)=(1,2,0,0) */
s_lshl_b32  s34, s[sgprStrideC1J], 1               // incToNextRow: Scale by BPE
	;; [unrolled: 5-line block ×15, first 2 shown]
s_add_u32  s[sgprSrdC+0], s[sgprSrdC+0], s34       // incToNextRow: gra SRD += inc(lower)
s_addc_u32  s[sgprSrdC+1], s[sgprSrdC+1], 0        // incToNextRow: gra SRD += inc(upper)
_buffer_load_b64 v[190:191], v7, s[sgprSrdC:sgprSrdC+3], 0, offen offset:0,  sc0 // load C for beta calc
_v_add_lshl_u32 v6, v3, v0, 0x1                    // optSingleColVgpr scaleToBpe: sharedAddrVgpr <- cinRowPtr + coord0, scaled by BPE. BSHERE:coord0=0, coord0Vgpr=0
s_sleep 3 // optimization: sync and wait
s_barrier
v_accvgpr_read_b32 v[vgprValuC+12], acc0 // copy acc to vreg[0]
v_accvgpr_read_b32 v[vgprValuC+13], acc4 // copy acc to vreg[1]
v_accvgpr_read_b32 v[vgprValuC+14], acc8 // copy acc to vreg[2]
v_accvgpr_read_b32 v[vgprValuC+15], acc12 // copy acc to vreg[3]
v_accvgpr_read_b32 v[vgprValuC+16], acc16 // copy acc to vreg[4]
v_accvgpr_read_b32 v[vgprValuC+17], acc20 // copy acc to vreg[5]
v_accvgpr_read_b32 v[vgprValuC+18], acc24 // copy acc to vreg[6]
v_accvgpr_read_b32 v[vgprValuC+19], acc28 // copy acc to vreg[7]
v_accvgpr_read_b32 v[vgprValuC+24], acc32 // copy acc to vreg[8]
v_accvgpr_read_b32 v[vgprValuC+25], acc36 // copy acc to vreg[9]
v_accvgpr_read_b32 v[vgprValuC+26], acc40 // copy acc to vreg[10]
v_accvgpr_read_b32 v[vgprValuC+27], acc44 // copy acc to vreg[11]
v_accvgpr_read_b32 v[vgprValuC+28], acc48 // copy acc to vreg[12]
v_accvgpr_read_b32 v[vgprValuC+29], acc52 // copy acc to vreg[13]
v_accvgpr_read_b32 v[vgprValuC+30], acc56 // copy acc to vreg[14]
v_accvgpr_read_b32 v[vgprValuC+31], acc60 // copy acc to vreg[15]
v_accvgpr_read_b32 v[vgprValuC+36], acc1 // copy acc to vreg[16]
v_accvgpr_read_b32 v[vgprValuC+37], acc5 // copy acc to vreg[17]
v_accvgpr_read_b32 v[vgprValuC+38], acc9 // copy acc to vreg[18]
v_accvgpr_read_b32 v[vgprValuC+39], acc13 // copy acc to vreg[19]
v_accvgpr_read_b32 v[vgprValuC+40], acc17 // copy acc to vreg[20]
v_accvgpr_read_b32 v[vgprValuC+41], acc21 // copy acc to vreg[21]
v_accvgpr_read_b32 v[vgprValuC+42], acc25 // copy acc to vreg[22]
v_accvgpr_read_b32 v[vgprValuC+43], acc29 // copy acc to vreg[23]
v_accvgpr_read_b32 v[vgprValuC+48], acc33 // copy acc to vreg[24]
v_accvgpr_read_b32 v[vgprValuC+49], acc37 // copy acc to vreg[25]
v_accvgpr_read_b32 v[vgprValuC+50], acc41 // copy acc to vreg[26]
v_accvgpr_read_b32 v[vgprValuC+51], acc45 // copy acc to vreg[27]
v_accvgpr_read_b32 v[vgprValuC+52], acc49 // copy acc to vreg[28]
v_accvgpr_read_b32 v[vgprValuC+53], acc53 // copy acc to vreg[29]
v_accvgpr_read_b32 v[vgprValuC+54], acc57 // copy acc to vreg[30]
v_accvgpr_read_b32 v[vgprValuC+55], acc61 // copy acc to vreg[31]
v_accvgpr_read_b32 v[vgprValuC+60], acc2 // copy acc to vreg[32]
v_accvgpr_read_b32 v[vgprValuC+61], acc6 // copy acc to vreg[33]
v_accvgpr_read_b32 v[vgprValuC+62], acc10 // copy acc to vreg[34]
v_accvgpr_read_b32 v[vgprValuC+63], acc14 // copy acc to vreg[35]
v_accvgpr_read_b32 v[vgprValuC+64], acc18 // copy acc to vreg[36]
v_accvgpr_read_b32 v[vgprValuC+65], acc22 // copy acc to vreg[37]
v_accvgpr_read_b32 v[vgprValuC+66], acc26 // copy acc to vreg[38]
v_accvgpr_read_b32 v[vgprValuC+67], acc30 // copy acc to vreg[39]
v_accvgpr_read_b32 v[vgprValuC+72], acc34 // copy acc to vreg[40]
v_accvgpr_read_b32 v[vgprValuC+73], acc38 // copy acc to vreg[41]
v_accvgpr_read_b32 v[vgprValuC+74], acc42 // copy acc to vreg[42]
v_accvgpr_read_b32 v[vgprValuC+75], acc46 // copy acc to vreg[43]
v_accvgpr_read_b32 v[vgprValuC+76], acc50 // copy acc to vreg[44]
v_accvgpr_read_b32 v[vgprValuC+77], acc54 // copy acc to vreg[45]
v_accvgpr_read_b32 v[vgprValuC+78], acc58 // copy acc to vreg[46]
v_accvgpr_read_b32 v[vgprValuC+79], acc62 // copy acc to vreg[47]
v_accvgpr_read_b32 v[vgprValuC+84], acc3 // copy acc to vreg[48]
v_accvgpr_read_b32 v[vgprValuC+85], acc7 // copy acc to vreg[49]
v_accvgpr_read_b32 v[vgprValuC+86], acc11 // copy acc to vreg[50]
v_accvgpr_read_b32 v[vgprValuC+87], acc15 // copy acc to vreg[51]
v_accvgpr_read_b32 v[vgprValuC+88], acc19 // copy acc to vreg[52]
v_accvgpr_read_b32 v[vgprValuC+89], acc23 // copy acc to vreg[53]
v_accvgpr_read_b32 v[vgprValuC+90], acc27 // copy acc to vreg[54]
v_accvgpr_read_b32 v[vgprValuC+91], acc31 // copy acc to vreg[55]
v_accvgpr_read_b32 v[vgprValuC+96], acc35 // copy acc to vreg[56]
v_accvgpr_read_b32 v[vgprValuC+97], acc39 // copy acc to vreg[57]
v_accvgpr_read_b32 v[vgprValuC+98], acc43 // copy acc to vreg[58]
v_accvgpr_read_b32 v[vgprValuC+99], acc47 // copy acc to vreg[59]
v_accvgpr_read_b32 v[vgprValuC+100], acc51 // copy acc to vreg[60]
v_accvgpr_read_b32 v[vgprValuC+101], acc55 // copy acc to vreg[61]
v_accvgpr_read_b32 v[vgprValuC+102], acc59 // copy acc to vreg[62]
v_accvgpr_read_b32 v[vgprValuC+103], acc63 // copy acc to vreg[63]
v_accvgpr_read_b32 v[vgprValuC+108], acc64 // copy acc to vreg[64]
v_accvgpr_read_b32 v[vgprValuC+109], acc68 // copy acc to vreg[65]
v_accvgpr_read_b32 v[vgprValuC+110], acc72 // copy acc to vreg[66]
v_accvgpr_read_b32 v[vgprValuC+111], acc76 // copy acc to vreg[67]
v_accvgpr_read_b32 v[vgprValuC+112], acc80 // copy acc to vreg[68]
v_accvgpr_read_b32 v[vgprValuC+113], acc84 // copy acc to vreg[69]
v_accvgpr_read_b32 v[vgprValuC+114], acc88 // copy acc to vreg[70]
v_accvgpr_read_b32 v[vgprValuC+115], acc92 // copy acc to vreg[71]
v_accvgpr_read_b32 v[vgprValuC+120], acc96 // copy acc to vreg[72]
v_accvgpr_read_b32 v[vgprValuC+121], acc100 // copy acc to vreg[73]
v_accvgpr_read_b32 v[vgprValuC+122], acc104 // copy acc to vreg[74]
v_accvgpr_read_b32 v[vgprValuC+123], acc108 // copy acc to vreg[75]
v_accvgpr_read_b32 v[vgprValuC+124], acc112 // copy acc to vreg[76]
v_accvgpr_read_b32 v[vgprValuC+125], acc116 // copy acc to vreg[77]
v_accvgpr_read_b32 v[vgprValuC+126], acc120 // copy acc to vreg[78]
v_accvgpr_read_b32 v[vgprValuC+127], acc124 // copy acc to vreg[79]
v_accvgpr_read_b32 v[vgprValuC+132], acc65 // copy acc to vreg[80]
v_accvgpr_read_b32 v[vgprValuC+133], acc69 // copy acc to vreg[81]
v_accvgpr_read_b32 v[vgprValuC+134], acc73 // copy acc to vreg[82]
v_accvgpr_read_b32 v[vgprValuC+135], acc77 // copy acc to vreg[83]
v_accvgpr_read_b32 v[vgprValuC+136], acc81 // copy acc to vreg[84]
v_accvgpr_read_b32 v[vgprValuC+137], acc85 // copy acc to vreg[85]
v_accvgpr_read_b32 v[vgprValuC+138], acc89 // copy acc to vreg[86]
v_accvgpr_read_b32 v[vgprValuC+139], acc93 // copy acc to vreg[87]
v_accvgpr_read_b32 v[vgprValuC+144], acc97 // copy acc to vreg[88]
v_accvgpr_read_b32 v[vgprValuC+145], acc101 // copy acc to vreg[89]
v_accvgpr_read_b32 v[vgprValuC+146], acc105 // copy acc to vreg[90]
v_accvgpr_read_b32 v[vgprValuC+147], acc109 // copy acc to vreg[91]
v_accvgpr_read_b32 v[vgprValuC+148], acc113 // copy acc to vreg[92]
v_accvgpr_read_b32 v[vgprValuC+149], acc117 // copy acc to vreg[93]
v_accvgpr_read_b32 v[vgprValuC+150], acc121 // copy acc to vreg[94]
v_accvgpr_read_b32 v[vgprValuC+151], acc125 // copy acc to vreg[95]
v_accvgpr_read_b32 v[vgprValuC+156], acc66 // copy acc to vreg[96]
v_accvgpr_read_b32 v[vgprValuC+157], acc70 // copy acc to vreg[97]
v_accvgpr_read_b32 v[vgprValuC+158], acc74 // copy acc to vreg[98]
v_accvgpr_read_b32 v[vgprValuC+159], acc78 // copy acc to vreg[99]
v_accvgpr_read_b32 v[vgprValuC+160], acc82 // copy acc to vreg[100]
v_accvgpr_read_b32 v[vgprValuC+161], acc86 // copy acc to vreg[101]
v_accvgpr_read_b32 v[vgprValuC+162], acc90 // copy acc to vreg[102]
v_accvgpr_read_b32 v[vgprValuC+163], acc94 // copy acc to vreg[103]
v_accvgpr_read_b32 v[vgprValuC+168], acc98 // copy acc to vreg[104]
v_accvgpr_read_b32 v[vgprValuC+169], acc102 // copy acc to vreg[105]
v_accvgpr_read_b32 v[vgprValuC+170], acc106 // copy acc to vreg[106]
v_accvgpr_read_b32 v[vgprValuC+171], acc110 // copy acc to vreg[107]
v_accvgpr_read_b32 v[vgprValuC+172], acc114 // copy acc to vreg[108]
v_accvgpr_read_b32 v[vgprValuC+173], acc118 // copy acc to vreg[109]
v_accvgpr_read_b32 v[vgprValuC+174], acc122 // copy acc to vreg[110]
v_accvgpr_read_b32 v[vgprValuC+175], acc126 // copy acc to vreg[111]
v_accvgpr_read_b32 v[vgprValuC+180], acc67 // copy acc to vreg[112]
v_accvgpr_read_b32 v[vgprValuC+181], acc71 // copy acc to vreg[113]
v_accvgpr_read_b32 v[vgprValuC+182], acc75 // copy acc to vreg[114]
v_accvgpr_read_b32 v[vgprValuC+183], acc79 // copy acc to vreg[115]
v_accvgpr_read_b32 v[vgprValuC+184], acc83 // copy acc to vreg[116]
v_accvgpr_read_b32 v[vgprValuC+185], acc87 // copy acc to vreg[117]
v_accvgpr_read_b32 v[vgprValuC+186], acc91 // copy acc to vreg[118]
v_accvgpr_read_b32 v[vgprValuC+187], acc95 // copy acc to vreg[119]
v_accvgpr_read_b32 v[vgprValuC+196], acc99 // copy acc to vreg[120]
v_accvgpr_read_b32 v[vgprValuC+197], acc103 // copy acc to vreg[121]
v_accvgpr_read_b32 v[vgprValuC+198], acc107 // copy acc to vreg[122]
v_accvgpr_read_b32 v[vgprValuC+199], acc111 // copy acc to vreg[123]
v_accvgpr_read_b32 v[vgprValuC+200], acc115 // copy acc to vreg[124]
v_accvgpr_read_b32 v[vgprValuC+201], acc119 // copy acc to vreg[125]
v_accvgpr_read_b32 v[vgprValuC+202], acc123 // copy acc to vreg[126]
v_accvgpr_read_b32 v[vgprValuC+203], acc127 // copy acc to vreg[127]
s_nop 1                                            // 2 wait states required before reading vgpr

/* rC *= alpha batchElements=[(0, 0, 0, 0), (0, 0, 1, 0), (0, 0, 2, 0), (0, 0, 3, 0), (0, 0, 4, 0), (0, 0, 5, 0), (0, 0, 6, 0), (0, 0, 7, 0), (0, 0, 8, 0), (0, 0, 9, 0), (0, 0, 10, 0), (0, 0, 11, 0), (0, 0, 12, 0), (0, 0, 13, 0), (0, 0, 14, 0), (0, 0, 15, 0), (1, 0, 0, 0), (1, 0, 1, 0), (1, 0, 2, 0), (1, 0, 3, 0), (1, 0, 4, 0), (1, 0, 5, 0), (1, 0, 6, 0), (1, 0, 7, 0), (1, 0, 8, 0), (1, 0, 9, 0), (1, 0, 10, 0), (1, 0, 11, 0), (1, 0, 12, 0), (1, 0, 13, 0), (1, 0, 14, 0), (1, 0, 15, 0)] */
v_mul_f32 v[vgprValuC+12], s[sgprAlpha], v[vgprValuC+12] // *= alpha
v_mul_f32 v[vgprValuC+13], s[sgprAlpha], v[vgprValuC+13] // *= alpha
	;; [unrolled: 1-line block ×128, first 2 shown]

/* apply mask, calc new C and issue writes */

s_waitcnt vmcnt(31)                                // wait C (interleaved) 31 = 32 - 0 + 0 - 1
v_fma_mix_f32 v[vgprValuC+12], s[sgprBeta], v8, v[vgprValuC+12], op_sel:[0,0,0] op_sel_hi:[0,1,0] // //C*=beta
v_fma_mix_f32 v[vgprValuC+13], s[sgprBeta], v8, v[vgprValuC+13], op_sel:[0,1,0] op_sel_hi:[0,1,0] // //C*=beta
	;; [unrolled: 1-line block ×4, first 2 shown]
v_cvt_f16_f32 v[vgprValuC+12], v[vgprValuC+12]     // convert C to fp16
v_cvt_f16_f32 v[vgprValuC+13], v[vgprValuC+13]     // convert C to fp16
v_pack_b32_f16 v12, v[vgprValuC+12], v[vgprValuC+13] // Pack with neighbor
v_cvt_f16_f32 v[vgprValuC+14], v[vgprValuC+14]     // convert C to fp16
v_cvt_f16_f32 v[vgprValuC+15], v[vgprValuC+15]     // convert C to fp16
v_pack_b32_f16 v13, v[vgprValuC+14], v[vgprValuC+15] // Pack with neighbor
_buffer_store_b64 v[12:13], v6, s[sgprSrdD:sgprSrdD+3], 0, offen, offset:0,  sc0 // store D

s_waitcnt vmcnt(31)                                // wait C (interleaved) 31 = 32 - 1 + 1 - 1
v_fma_mix_f32 v[vgprValuC+16], s[sgprBeta], v10, v[vgprValuC+16], op_sel:[0,0,0] op_sel_hi:[0,1,0] // //C*=beta
v_fma_mix_f32 v[vgprValuC+17], s[sgprBeta], v10, v[vgprValuC+17], op_sel:[0,1,0] op_sel_hi:[0,1,0] // //C*=beta
v_fma_mix_f32 v[vgprValuC+18], s[sgprBeta], v11, v[vgprValuC+18], op_sel:[0,0,0] op_sel_hi:[0,1,0] // //C*=beta
v_fma_mix_f32 v[vgprValuC+19], s[sgprBeta], v11, v[vgprValuC+19], op_sel:[0,1,0] op_sel_hi:[0,1,0] // //C*=beta
v_cvt_f16_f32 v[vgprValuC+16], v[vgprValuC+16]     // convert C to fp16
v_cvt_f16_f32 v[vgprValuC+17], v[vgprValuC+17]     // convert C to fp16
v_pack_b32_f16 v16, v[vgprValuC+16], v[vgprValuC+17] // Pack with neighbor
v_cvt_f16_f32 v[vgprValuC+18], v[vgprValuC+18]     // convert C to fp16
v_cvt_f16_f32 v[vgprValuC+19], v[vgprValuC+19]     // convert C to fp16
v_pack_b32_f16 v17, v[vgprValuC+18], v[vgprValuC+19] // Pack with neighbor
s_lshl_b32  s34, s[sgprStrideD1J], 1               // incToNextRow: Scale by BPE
s_add_u32  s[sgprSrdD+0], s[sgprSrdD+0], s34       // incToNextRow: gra SRD += inc(lower)
s_addc_u32  s[sgprSrdD+1], s[sgprSrdD+1], 0        // incToNextRow: gra SRD += inc(upper)
_buffer_store_b64 v[16:17], v6, s[sgprSrdD:sgprSrdD+3], 0, offen, offset:0,  sc0 // store D

s_waitcnt vmcnt(31)                                // wait C (interleaved) 31 = 32 - 2 + 2 - 1
v_fma_mix_f32 v[vgprValuC+24], s[sgprBeta], v20, v[vgprValuC+24], op_sel:[0,0,0] op_sel_hi:[0,1,0] // //C*=beta
v_fma_mix_f32 v[vgprValuC+25], s[sgprBeta], v20, v[vgprValuC+25], op_sel:[0,1,0] op_sel_hi:[0,1,0] // //C*=beta
v_fma_mix_f32 v[vgprValuC+26], s[sgprBeta], v21, v[vgprValuC+26], op_sel:[0,0,0] op_sel_hi:[0,1,0] // //C*=beta
v_fma_mix_f32 v[vgprValuC+27], s[sgprBeta], v21, v[vgprValuC+27], op_sel:[0,1,0] op_sel_hi:[0,1,0] // //C*=beta
v_cvt_f16_f32 v[vgprValuC+24], v[vgprValuC+24]     // convert C to fp16
v_cvt_f16_f32 v[vgprValuC+25], v[vgprValuC+25]     // convert C to fp16
v_pack_b32_f16 v24, v[vgprValuC+24], v[vgprValuC+25] // Pack with neighbor
v_cvt_f16_f32 v[vgprValuC+26], v[vgprValuC+26]     // convert C to fp16
v_cvt_f16_f32 v[vgprValuC+27], v[vgprValuC+27]     // convert C to fp16
v_pack_b32_f16 v25, v[vgprValuC+26], v[vgprValuC+27] // Pack with neighbor
s_lshl_b32  s34, s[sgprStrideD1J], 1               // incToNextRow: Scale by BPE
s_add_u32  s[sgprSrdD+0], s[sgprSrdD+0], s34       // incToNextRow: gra SRD += inc(lower)
s_addc_u32  s[sgprSrdD+1], s[sgprSrdD+1], 0        // incToNextRow: gra SRD += inc(upper)
	;; [unrolled: 16-line block ×14, first 2 shown]
_buffer_store_b64 v[96:97], v6, s[sgprSrdD:sgprSrdD+3], 0, offen, offset:0,  sc0 // store D

s_waitcnt vmcnt(31)                                // wait C (interleaved) 31 = 32 - 15 + 15 - 1
v_fma_mix_f32 v[vgprValuC+100], s[sgprBeta], v94, v[vgprValuC+100], op_sel:[0,0,0] op_sel_hi:[0,1,0] // //C*=beta
v_fma_mix_f32 v[vgprValuC+101], s[sgprBeta], v94, v[vgprValuC+101], op_sel:[0,1,0] op_sel_hi:[0,1,0] // //C*=beta
v_fma_mix_f32 v[vgprValuC+102], s[sgprBeta], v95, v[vgprValuC+102], op_sel:[0,0,0] op_sel_hi:[0,1,0] // //C*=beta
v_fma_mix_f32 v[vgprValuC+103], s[sgprBeta], v95, v[vgprValuC+103], op_sel:[0,1,0] op_sel_hi:[0,1,0] // //C*=beta
v_cvt_f16_f32 v[vgprValuC+100], v[vgprValuC+100]   // convert C to fp16
v_cvt_f16_f32 v[vgprValuC+101], v[vgprValuC+101]   // convert C to fp16
v_pack_b32_f16 v100, v[vgprValuC+100], v[vgprValuC+101] // Pack with neighbor
v_cvt_f16_f32 v[vgprValuC+102], v[vgprValuC+102]   // convert C to fp16
v_cvt_f16_f32 v[vgprValuC+103], v[vgprValuC+103]   // convert C to fp16
v_pack_b32_f16 v101, v[vgprValuC+102], v[vgprValuC+103] // Pack with neighbor
s_lshl_b32  s34, s[sgprStrideD1J], 1               // incToNextRow: Scale by BPE
s_add_u32  s[sgprSrdD+0], s[sgprSrdD+0], s34       // incToNextRow: gra SRD += inc(lower)
s_addc_u32  s[sgprSrdD+1], s[sgprSrdD+1], 0        // incToNextRow: gra SRD += inc(upper)
_buffer_store_b64 v[100:101], v6, s[sgprSrdD:sgprSrdD+3], 0, offen, offset:0,  sc0 // store D

s_waitcnt vmcnt(31)                                // wait C (interleaved) 31 = 32 - 16 + 16 - 1
v_fma_mix_f32 v[vgprValuC+108], s[sgprBeta], v104, v[vgprValuC+108], op_sel:[0,0,0] op_sel_hi:[0,1,0] // //C*=beta
v_fma_mix_f32 v[vgprValuC+109], s[sgprBeta], v104, v[vgprValuC+109], op_sel:[0,1,0] op_sel_hi:[0,1,0] // //C*=beta
	;; [unrolled: 1-line block ×4, first 2 shown]
v_cvt_f16_f32 v[vgprValuC+108], v[vgprValuC+108]   // convert C to fp16
v_cvt_f16_f32 v[vgprValuC+109], v[vgprValuC+109]   // convert C to fp16
v_pack_b32_f16 v108, v[vgprValuC+108], v[vgprValuC+109] // Pack with neighbor
v_cvt_f16_f32 v[vgprValuC+110], v[vgprValuC+110]   // convert C to fp16
v_cvt_f16_f32 v[vgprValuC+111], v[vgprValuC+111]   // convert C to fp16
v_pack_b32_f16 v109, v[vgprValuC+110], v[vgprValuC+111] // Pack with neighbor
s_mul_i32 s34, s[sgprStrideD1J], 98                // scale StrideD *= numRows(49) * bpe
s_add_u32  s[sgprSrdD+0], s[sgprSrdD+0], s34       // incToNextRow: gra SRD += inc(lower)
s_addc_u32  s[sgprSrdD+1], s[sgprSrdD+1], 0        // incToNextRow: gra SRD += inc(upper)
_buffer_store_b64 v[108:109], v6, s[sgprSrdD:sgprSrdD+3], 0, offen, offset:0,  sc0 // store D

s_waitcnt vmcnt(31)                                // wait C (interleaved) 31 = 32 - 17 + 17 - 1
v_fma_mix_f32 v[vgprValuC+112], s[sgprBeta], v106, v[vgprValuC+112], op_sel:[0,0,0] op_sel_hi:[0,1,0] // //C*=beta
v_fma_mix_f32 v[vgprValuC+113], s[sgprBeta], v106, v[vgprValuC+113], op_sel:[0,1,0] op_sel_hi:[0,1,0] // //C*=beta
v_fma_mix_f32 v[vgprValuC+114], s[sgprBeta], v107, v[vgprValuC+114], op_sel:[0,0,0] op_sel_hi:[0,1,0] // //C*=beta
v_fma_mix_f32 v[vgprValuC+115], s[sgprBeta], v107, v[vgprValuC+115], op_sel:[0,1,0] op_sel_hi:[0,1,0] // //C*=beta
v_cvt_f16_f32 v[vgprValuC+112], v[vgprValuC+112]   // convert C to fp16
v_cvt_f16_f32 v[vgprValuC+113], v[vgprValuC+113]   // convert C to fp16
v_pack_b32_f16 v112, v[vgprValuC+112], v[vgprValuC+113] // Pack with neighbor
v_cvt_f16_f32 v[vgprValuC+114], v[vgprValuC+114]   // convert C to fp16
v_cvt_f16_f32 v[vgprValuC+115], v[vgprValuC+115]   // convert C to fp16
v_pack_b32_f16 v113, v[vgprValuC+114], v[vgprValuC+115] // Pack with neighbor
s_lshl_b32  s34, s[sgprStrideD1J], 1               // incToNextRow: Scale by BPE
s_add_u32  s[sgprSrdD+0], s[sgprSrdD+0], s34       // incToNextRow: gra SRD += inc(lower)
s_addc_u32  s[sgprSrdD+1], s[sgprSrdD+1], 0        // incToNextRow: gra SRD += inc(upper)
_buffer_store_b64 v[112:113], v6, s[sgprSrdD:sgprSrdD+3], 0, offen, offset:0,  sc0 // store D

s_waitcnt vmcnt(31)                                // wait C (interleaved) 31 = 32 - 18 + 18 - 1
v_fma_mix_f32 v[vgprValuC+120], s[sgprBeta], v116, v[vgprValuC+120], op_sel:[0,0,0] op_sel_hi:[0,1,0] // //C*=beta
v_fma_mix_f32 v[vgprValuC+121], s[sgprBeta], v116, v[vgprValuC+121], op_sel:[0,1,0] op_sel_hi:[0,1,0] // //C*=beta
v_fma_mix_f32 v[vgprValuC+122], s[sgprBeta], v117, v[vgprValuC+122], op_sel:[0,0,0] op_sel_hi:[0,1,0] // //C*=beta
v_fma_mix_f32 v[vgprValuC+123], s[sgprBeta], v117, v[vgprValuC+123], op_sel:[0,1,0] op_sel_hi:[0,1,0] // //C*=beta
v_cvt_f16_f32 v[vgprValuC+120], v[vgprValuC+120]   // convert C to fp16
v_cvt_f16_f32 v[vgprValuC+121], v[vgprValuC+121]   // convert C to fp16
v_pack_b32_f16 v120, v[vgprValuC+120], v[vgprValuC+121] // Pack with neighbor
v_cvt_f16_f32 v[vgprValuC+122], v[vgprValuC+122]   // convert C to fp16
v_cvt_f16_f32 v[vgprValuC+123], v[vgprValuC+123]   // convert C to fp16
v_pack_b32_f16 v121, v[vgprValuC+122], v[vgprValuC+123] // Pack with neighbor
s_lshl_b32  s34, s[sgprStrideD1J], 1               // incToNextRow: Scale by BPE
	;; [unrolled: 16-line block ×15, first 2 shown]
s_add_u32  s[sgprSrdD+0], s[sgprSrdD+0], s34       // incToNextRow: gra SRD += inc(lower)
s_addc_u32  s[sgprSrdD+1], s[sgprSrdD+1], 0        // incToNextRow: gra SRD += inc(upper)
_buffer_store_b64 v[200:201], v6, s[sgprSrdD:sgprSrdD+3], 0, offen, offset:0,  sc0 // store D
s_nop 0                                            // 1 wait state required when next inst writes vgprs held by previous dwordx4 store inst
s_branch label_GW_End_44                           // jump to end
GW_B1_E1_43:

/* edge=1, allocate 6 sgpr. perBatchTmpS=4 perBatchMaskS=2 perElementMaskS=0 elementsPerBatch=34 */
/* optSingleColVgpr=0 optSharedColVgpr=0 optSGPRUsage=BufferLoad_Edge_Mask optSrdIncForRow=0 */
s_sleep 3 // optimization: sync and wait
s_barrier

/******************************************/
/* Global Write Alpha Beta Edge Batch #0 (d1,d0,vc1,vc0) = */
/*    (0,0,0,0:vw4); (0,0,1,0:vw4); (0,0,2,0:vw4); (0,0,3,0:vw4); (0,0,4,0:vw4); (0,0,5,0:vw4); (0,0,6,0:vw4); (0,0,7,0:vw4); (0,0,8,0:vw4); (0,0,9,0:vw4); (0,0,10,0:vw4); (0,0,11,0:vw4); (0,0,12,0:vw4); (0,0,13,0:vw4); (0,0,14,0:vw4); (0,0,15,0:vw4); (1,0,0,0:vw4); (1,0,1,0:vw4); (1,0,2,0:vw4); (1,0,3,0:vw4); (1,0,4,0:vw4); (1,0,5,0:vw4); (1,0,6,0:vw4); (1,0,7,0:vw4); (1,0,8,0:vw4); (1,0,9,0:vw4); (1,0,10,0:vw4); (1,0,11,0:vw4); (1,0,12,0:vw4); (1,0,13,0:vw4); (1,0,14,0:vw4); (1,0,15,0:vw4) */
/******************************************/

/* calc coords, apply mask, and issue loads (if necessary) */
/* (d1,vc1,d0,vc0)=(0,0,0,0) */
v_cmp_lt_u32 s[52:53], v0, s[sgprSizeI]            // coord0 < size0
v_cmp_lt_u32 s[56:57], v1, s[sgprSizeJ]            // coord1 < size1
s_and_b64 s[56:57], s[52:53], s[56:57]             // in0 && in1
_v_add_lshl_u32 v6, v2, v0, 0x1                    // scaleToBpe: accumulate d0 lower and *= bpe into Cin addr
v_cndmask_b32 v6, -1, v6, s[56:57]                 // LDC clip if OOB. offset
_buffer_load_b64 v[8:9], v6, s[sgprSrdC:sgprSrdC+3], 0, offen offset:0,  sc0 // load C for beta calc
_v_add_lshl_u32 v6, v3, v0, 0x1                    // scaleToBpe: accumulate d0 lower and *= bpe into Cin addr
v_cndmask_b32 v6, -1, v6, s[56:57]                 // LDD clip if OOB. offset
/* (d1,vc1,d0,vc0)=(0,1,0,0) */
_v_add_co_u32 v1, vcc, v1, 1                       // coord1.1: coord1Vgpr += d1*sg1*VW + vc1

/* Fix for UseInitialStridesCD, emitAddressSetupCode */
_v_add_u32 v2, v2, s[sgprStrideC1J]                // ROWINC- Move cinRowPtr to next row
_v_add_u32 v3, v3, s[sgprStrideD1J]                // Move coutRowPtr to next row
v_cmp_lt_u32 s[52:53], v0, s[sgprSizeI]            // coord0 < size0
v_cmp_lt_u32 s[56:57], v1, s[sgprSizeJ]            // coord1 < size1
s_and_b64 s[56:57], s[52:53], s[56:57]             // in0 && in1
_v_add_lshl_u32 v7, v2, v0, 0x1                    // scaleToBpe: accumulate d0 lower and *= bpe into Cin addr
v_cndmask_b32 v7, -1, v7, s[56:57]                 // LDC clip if OOB. offset
_buffer_load_b64 v[10:11], v7, s[sgprSrdC:sgprSrdC+3], 0, offen offset:0,  sc0 // load C for beta calc
_v_add_lshl_u32 v7, v3, v0, 0x1                    // scaleToBpe: accumulate d0 lower and *= bpe into Cin addr
v_cndmask_b32 v7, -1, v7, s[56:57]                 // LDD clip if OOB. offset
/* (d1,vc1,d0,vc0)=(0,2,0,0) */
_v_add_co_u32 v1, vcc, v1, 1                       // coord1.1: coord1Vgpr += d1*sg1*VW + vc1

/* Fix for UseInitialStridesCD, emitAddressSetupCode */
_v_add_u32 v2, v2, s[sgprStrideC1J]                // ROWINC- Move cinRowPtr to next row
_v_add_u32 v3, v3, s[sgprStrideD1J]                // Move coutRowPtr to next row
v_cmp_lt_u32 s[52:53], v0, s[sgprSizeI]            // coord0 < size0
v_cmp_lt_u32 s[56:57], v1, s[sgprSizeJ]            // coord1 < size1
s_and_b64 s[56:57], s[52:53], s[56:57]             // in0 && in1
_v_add_lshl_u32 v20, v2, v0, 0x1                   // scaleToBpe: accumulate d0 lower and *= bpe into Cin addr
v_cndmask_b32 v20, -1, v20, s[56:57]               // LDC clip if OOB. offset
_buffer_load_b64 v[22:23], v20, s[sgprSrdC:sgprSrdC+3], 0, offen offset:0,  sc0 // load C for beta calc
_v_add_lshl_u32 v20, v3, v0, 0x1                   // scaleToBpe: accumulate d0 lower and *= bpe into Cin addr
v_cndmask_b32 v20, -1, v20, s[56:57]               // LDD clip if OOB. offset
/* (d1,vc1,d0,vc0)=(0,3,0,0) */
_v_add_co_u32 v1, vcc, v1, 1                       // coord1.1: coord1Vgpr += d1*sg1*VW + vc1

/* Fix for UseInitialStridesCD, emitAddressSetupCode */
_v_add_u32 v2, v2, s[sgprStrideC1J]                // ROWINC- Move cinRowPtr to next row
_v_add_u32 v3, v3, s[sgprStrideD1J]                // Move coutRowPtr to next row
v_cmp_lt_u32 s[52:53], v0, s[sgprSizeI]            // coord0 < size0
v_cmp_lt_u32 s[56:57], v1, s[sgprSizeJ]            // coord1 < size1
s_and_b64 s[56:57], s[52:53], s[56:57]             // in0 && in1
_v_add_lshl_u32 v21, v2, v0, 0x1                   // scaleToBpe: accumulate d0 lower and *= bpe into Cin addr
v_cndmask_b32 v21, -1, v21, s[56:57]               // LDC clip if OOB. offset
_buffer_load_b64 v[28:29], v21, s[sgprSrdC:sgprSrdC+3], 0, offen offset:0,  sc0 // load C for beta calc
_v_add_lshl_u32 v21, v3, v0, 0x1                   // scaleToBpe: accumulate d0 lower and *= bpe into Cin addr
v_cndmask_b32 v21, -1, v21, s[56:57]               // LDD clip if OOB. offset
	;; [unrolled: 14-line block ×12, first 2 shown]
/* (d1,vc1,d0,vc0)=(0,14,0,0) */
_v_add_co_u32 v1, vcc, v1, 1                       // coord1.1: coord1Vgpr += d1*sg1*VW + vc1

/* Fix for UseInitialStridesCD, emitAddressSetupCode */
_v_add_u32 v2, v2, s[sgprStrideC1J]                // ROWINC- Move cinRowPtr to next row
_v_add_u32 v3, v3, s[sgprStrideD1J]                // Move coutRowPtr to next row
v_cmp_lt_u32 s[52:53], v0, s[sgprSizeI]            // coord0 < size0
v_cmp_lt_u32 s[56:57], v1, s[sgprSizeJ]            // coord1 < size1
s_and_b64 s[56:57], s[52:53], s[56:57]             // in0 && in1
_v_add_lshl_u32 v104, v2, v0, 0x1                  // scaleToBpe: accumulate d0 lower and *= bpe into Cin addr
v_cndmask_b32 v104, -1, v104, s[56:57]             // LDC clip if OOB. offset
_buffer_load_b64 v[106:107], v104, s[sgprSrdC:sgprSrdC+3], 0, offen offset:0,  sc0 // load C for beta calc
_v_add_lshl_u32 v104, v3, v0, 0x1                  // scaleToBpe: accumulate d0 lower and *= bpe into Cin addr
v_cndmask_b32 v104, -1, v104, s[56:57]             // LDD clip if OOB. offset
/* (d1,vc1,d0,vc0)=(0,15,0,0) */
_v_add_co_u32 v1, vcc, v1, 1                       // coord1.1: coord1Vgpr += d1*sg1*VW + vc1

/* Fix for UseInitialStridesCD, emitAddressSetupCode */
_v_add_u32 v2, v2, s[sgprStrideC1J]                // ROWINC- Move cinRowPtr to next row
_v_add_u32 v3, v3, s[sgprStrideD1J]                // Move coutRowPtr to next row
v_cmp_lt_u32 s[52:53], v0, s[sgprSizeI]            // coord0 < size0
v_cmp_lt_u32 s[56:57], v1, s[sgprSizeJ]            // coord1 < size1
s_and_b64 s[56:57], s[52:53], s[56:57]             // in0 && in1
_v_add_lshl_u32 v105, v2, v0, 0x1                  // scaleToBpe: accumulate d0 lower and *= bpe into Cin addr
v_cndmask_b32 v105, -1, v105, s[56:57]             // LDC clip if OOB. offset
_buffer_load_b64 v[112:113], v105, s[sgprSrdC:sgprSrdC+3], 0, offen offset:0,  sc0 // load C for beta calc
_v_add_lshl_u32 v105, v3, v0, 0x1                  // scaleToBpe: accumulate d0 lower and *= bpe into Cin addr
v_cndmask_b32 v105, -1, v105, s[56:57]             // LDD clip if OOB. offset
/* (d1,vc1,d0,vc0)=(1,0,0,0) */
_v_add_co_u32 v1, vcc, v1, 49                      // coord1.1: coord1Vgpr += d1*sg1*VW + vc1

/* Fix for UseInitialStridesCD, emitAddressSetupCode */
s_mul_i32 s52, s[sgprStrideC1J], 49                // scale stride
_v_add_u32 v2, v2, s52                             // ROWINC- Move cinRowPtr to next row
s_mul_i32 s52, s[sgprStrideD1J], 49                // scale stride
_v_add_u32 v3, v3, s52                             // Move coutRowPtr to next row
v_cmp_lt_u32 s[52:53], v0, s[sgprSizeI]            // coord0 < size0
v_cmp_lt_u32 s[56:57], v1, s[sgprSizeJ]            // coord1 < size1
s_and_b64 s[56:57], s[52:53], s[56:57]             // in0 && in1
_v_add_lshl_u32 v114, v2, v0, 0x1                  // scaleToBpe: accumulate d0 lower and *= bpe into Cin addr
v_cndmask_b32 v114, -1, v114, s[56:57]             // LDC clip if OOB. offset
_buffer_load_b64 v[120:121], v114, s[sgprSrdC:sgprSrdC+3], 0, offen offset:0,  sc0 // load C for beta calc
_v_add_lshl_u32 v114, v3, v0, 0x1                  // scaleToBpe: accumulate d0 lower and *= bpe into Cin addr
v_cndmask_b32 v114, -1, v114, s[56:57]             // LDD clip if OOB. offset
/* (d1,vc1,d0,vc0)=(1,1,0,0) */
_v_add_co_u32 v1, vcc, v1, 1                       // coord1.1: coord1Vgpr += d1*sg1*VW + vc1

/* Fix for UseInitialStridesCD, emitAddressSetupCode */
_v_add_u32 v2, v2, s[sgprStrideC1J]                // ROWINC- Move cinRowPtr to next row
_v_add_u32 v3, v3, s[sgprStrideD1J]                // Move coutRowPtr to next row
v_cmp_lt_u32 s[52:53], v0, s[sgprSizeI]            // coord0 < size0
v_cmp_lt_u32 s[56:57], v1, s[sgprSizeJ]            // coord1 < size1
s_and_b64 s[56:57], s[52:53], s[56:57]             // in0 && in1
_v_add_lshl_u32 v115, v2, v0, 0x1                  // scaleToBpe: accumulate d0 lower and *= bpe into Cin addr
v_cndmask_b32 v115, -1, v115, s[56:57]             // LDC clip if OOB. offset
_buffer_load_b64 v[122:123], v115, s[sgprSrdC:sgprSrdC+3], 0, offen offset:0,  sc0 // load C for beta calc
_v_add_lshl_u32 v115, v3, v0, 0x1                  // scaleToBpe: accumulate d0 lower and *= bpe into Cin addr
v_cndmask_b32 v115, -1, v115, s[56:57]             // LDD clip if OOB. offset
/* (d1,vc1,d0,vc0)=(1,2,0,0) */
_v_add_co_u32 v1, vcc, v1, 1                       // coord1.1: coord1Vgpr += d1*sg1*VW + vc1

/* Fix for UseInitialStridesCD, emitAddressSetupCode */
_v_add_u32 v2, v2, s[sgprStrideC1J]                // ROWINC- Move cinRowPtr to next row
_v_add_u32 v3, v3, s[sgprStrideD1J]                // Move coutRowPtr to next row
	;; [unrolled: 14-line block ×15, first 2 shown]
v_cmp_lt_u32 s[52:53], v0, s[sgprSizeI]            // coord0 < size0
v_cmp_lt_u32 s[56:57], v1, s[sgprSizeJ]            // coord1 < size1
s_and_b64 s[56:57], s[52:53], s[56:57]             // in0 && in1
_v_add_lshl_u32 v215, v2, v0, 0x1                  // scaleToBpe: accumulate d0 lower and *= bpe into Cin addr
v_cndmask_b32 v215, -1, v215, s[56:57]             // LDC clip if OOB. offset
_buffer_load_b64 v[222:223], v215, s[sgprSrdC:sgprSrdC+3], 0, offen offset:0,  sc0 // load C for beta calc
_v_add_lshl_u32 v215, v3, v0, 0x1                  // scaleToBpe: accumulate d0 lower and *= bpe into Cin addr
v_cndmask_b32 v215, -1, v215, s[56:57]             // LDD clip if OOB. offset
s_sleep 3 // optimization: sync and wait
s_barrier
v_accvgpr_read_b32 v[vgprValuC+12], acc0 // copy acc to vreg[0]
v_accvgpr_read_b32 v[vgprValuC+13], acc4 // copy acc to vreg[1]
v_accvgpr_read_b32 v[vgprValuC+14], acc8 // copy acc to vreg[2]
v_accvgpr_read_b32 v[vgprValuC+15], acc12 // copy acc to vreg[3]
v_accvgpr_read_b32 v[vgprValuC+16], acc16 // copy acc to vreg[4]
v_accvgpr_read_b32 v[vgprValuC+17], acc20 // copy acc to vreg[5]
v_accvgpr_read_b32 v[vgprValuC+18], acc24 // copy acc to vreg[6]
v_accvgpr_read_b32 v[vgprValuC+19], acc28 // copy acc to vreg[7]
v_accvgpr_read_b32 v[vgprValuC+24], acc32 // copy acc to vreg[8]
v_accvgpr_read_b32 v[vgprValuC+25], acc36 // copy acc to vreg[9]
v_accvgpr_read_b32 v[vgprValuC+26], acc40 // copy acc to vreg[10]
v_accvgpr_read_b32 v[vgprValuC+27], acc44 // copy acc to vreg[11]
v_accvgpr_read_b32 v[vgprValuC+32], acc48 // copy acc to vreg[12]
v_accvgpr_read_b32 v[vgprValuC+33], acc52 // copy acc to vreg[13]
v_accvgpr_read_b32 v[vgprValuC+34], acc56 // copy acc to vreg[14]
v_accvgpr_read_b32 v[vgprValuC+35], acc60 // copy acc to vreg[15]
v_accvgpr_read_b32 v[vgprValuC+40], acc1 // copy acc to vreg[16]
v_accvgpr_read_b32 v[vgprValuC+41], acc5 // copy acc to vreg[17]
v_accvgpr_read_b32 v[vgprValuC+42], acc9 // copy acc to vreg[18]
v_accvgpr_read_b32 v[vgprValuC+43], acc13 // copy acc to vreg[19]
v_accvgpr_read_b32 v[vgprValuC+44], acc17 // copy acc to vreg[20]
v_accvgpr_read_b32 v[vgprValuC+45], acc21 // copy acc to vreg[21]
v_accvgpr_read_b32 v[vgprValuC+46], acc25 // copy acc to vreg[22]
v_accvgpr_read_b32 v[vgprValuC+47], acc29 // copy acc to vreg[23]
v_accvgpr_read_b32 v[vgprValuC+52], acc33 // copy acc to vreg[24]
v_accvgpr_read_b32 v[vgprValuC+53], acc37 // copy acc to vreg[25]
v_accvgpr_read_b32 v[vgprValuC+54], acc41 // copy acc to vreg[26]
v_accvgpr_read_b32 v[vgprValuC+55], acc45 // copy acc to vreg[27]
v_accvgpr_read_b32 v[vgprValuC+60], acc49 // copy acc to vreg[28]
v_accvgpr_read_b32 v[vgprValuC+61], acc53 // copy acc to vreg[29]
v_accvgpr_read_b32 v[vgprValuC+62], acc57 // copy acc to vreg[30]
v_accvgpr_read_b32 v[vgprValuC+63], acc61 // copy acc to vreg[31]
v_accvgpr_read_b32 v[vgprValuC+68], acc2 // copy acc to vreg[32]
v_accvgpr_read_b32 v[vgprValuC+69], acc6 // copy acc to vreg[33]
v_accvgpr_read_b32 v[vgprValuC+70], acc10 // copy acc to vreg[34]
v_accvgpr_read_b32 v[vgprValuC+71], acc14 // copy acc to vreg[35]
v_accvgpr_read_b32 v[vgprValuC+72], acc18 // copy acc to vreg[36]
v_accvgpr_read_b32 v[vgprValuC+73], acc22 // copy acc to vreg[37]
v_accvgpr_read_b32 v[vgprValuC+74], acc26 // copy acc to vreg[38]
v_accvgpr_read_b32 v[vgprValuC+75], acc30 // copy acc to vreg[39]
v_accvgpr_read_b32 v[vgprValuC+80], acc34 // copy acc to vreg[40]
v_accvgpr_read_b32 v[vgprValuC+81], acc38 // copy acc to vreg[41]
v_accvgpr_read_b32 v[vgprValuC+82], acc42 // copy acc to vreg[42]
v_accvgpr_read_b32 v[vgprValuC+83], acc46 // copy acc to vreg[43]
v_accvgpr_read_b32 v[vgprValuC+88], acc50 // copy acc to vreg[44]
v_accvgpr_read_b32 v[vgprValuC+89], acc54 // copy acc to vreg[45]
v_accvgpr_read_b32 v[vgprValuC+90], acc58 // copy acc to vreg[46]
v_accvgpr_read_b32 v[vgprValuC+91], acc62 // copy acc to vreg[47]
v_accvgpr_read_b32 v[vgprValuC+96], acc3 // copy acc to vreg[48]
v_accvgpr_read_b32 v[vgprValuC+97], acc7 // copy acc to vreg[49]
v_accvgpr_read_b32 v[vgprValuC+98], acc11 // copy acc to vreg[50]
v_accvgpr_read_b32 v[vgprValuC+99], acc15 // copy acc to vreg[51]
v_accvgpr_read_b32 v[vgprValuC+100], acc19 // copy acc to vreg[52]
v_accvgpr_read_b32 v[vgprValuC+101], acc23 // copy acc to vreg[53]
v_accvgpr_read_b32 v[vgprValuC+102], acc27 // copy acc to vreg[54]
v_accvgpr_read_b32 v[vgprValuC+103], acc31 // copy acc to vreg[55]
v_accvgpr_read_b32 v[vgprValuC+108], acc35 // copy acc to vreg[56]
v_accvgpr_read_b32 v[vgprValuC+109], acc39 // copy acc to vreg[57]
v_accvgpr_read_b32 v[vgprValuC+110], acc43 // copy acc to vreg[58]
v_accvgpr_read_b32 v[vgprValuC+111], acc47 // copy acc to vreg[59]
v_accvgpr_read_b32 v[vgprValuC+116], acc51 // copy acc to vreg[60]
v_accvgpr_read_b32 v[vgprValuC+117], acc55 // copy acc to vreg[61]
v_accvgpr_read_b32 v[vgprValuC+118], acc59 // copy acc to vreg[62]
v_accvgpr_read_b32 v[vgprValuC+119], acc63 // copy acc to vreg[63]
v_accvgpr_read_b32 v[vgprValuC+124], acc64 // copy acc to vreg[64]
v_accvgpr_read_b32 v[vgprValuC+125], acc68 // copy acc to vreg[65]
v_accvgpr_read_b32 v[vgprValuC+126], acc72 // copy acc to vreg[66]
v_accvgpr_read_b32 v[vgprValuC+127], acc76 // copy acc to vreg[67]
v_accvgpr_read_b32 v[vgprValuC+128], acc80 // copy acc to vreg[68]
v_accvgpr_read_b32 v[vgprValuC+129], acc84 // copy acc to vreg[69]
v_accvgpr_read_b32 v[vgprValuC+130], acc88 // copy acc to vreg[70]
v_accvgpr_read_b32 v[vgprValuC+131], acc92 // copy acc to vreg[71]
v_accvgpr_read_b32 v[vgprValuC+136], acc96 // copy acc to vreg[72]
v_accvgpr_read_b32 v[vgprValuC+137], acc100 // copy acc to vreg[73]
v_accvgpr_read_b32 v[vgprValuC+138], acc104 // copy acc to vreg[74]
v_accvgpr_read_b32 v[vgprValuC+139], acc108 // copy acc to vreg[75]
v_accvgpr_read_b32 v[vgprValuC+144], acc112 // copy acc to vreg[76]
v_accvgpr_read_b32 v[vgprValuC+145], acc116 // copy acc to vreg[77]
v_accvgpr_read_b32 v[vgprValuC+146], acc120 // copy acc to vreg[78]
v_accvgpr_read_b32 v[vgprValuC+147], acc124 // copy acc to vreg[79]
v_accvgpr_read_b32 v[vgprValuC+152], acc65 // copy acc to vreg[80]
v_accvgpr_read_b32 v[vgprValuC+153], acc69 // copy acc to vreg[81]
v_accvgpr_read_b32 v[vgprValuC+154], acc73 // copy acc to vreg[82]
v_accvgpr_read_b32 v[vgprValuC+155], acc77 // copy acc to vreg[83]
v_accvgpr_read_b32 v[vgprValuC+156], acc81 // copy acc to vreg[84]
v_accvgpr_read_b32 v[vgprValuC+157], acc85 // copy acc to vreg[85]
v_accvgpr_read_b32 v[vgprValuC+158], acc89 // copy acc to vreg[86]
v_accvgpr_read_b32 v[vgprValuC+159], acc93 // copy acc to vreg[87]
v_accvgpr_read_b32 v[vgprValuC+164], acc97 // copy acc to vreg[88]
v_accvgpr_read_b32 v[vgprValuC+165], acc101 // copy acc to vreg[89]
v_accvgpr_read_b32 v[vgprValuC+166], acc105 // copy acc to vreg[90]
v_accvgpr_read_b32 v[vgprValuC+167], acc109 // copy acc to vreg[91]
v_accvgpr_read_b32 v[vgprValuC+172], acc113 // copy acc to vreg[92]
v_accvgpr_read_b32 v[vgprValuC+173], acc117 // copy acc to vreg[93]
v_accvgpr_read_b32 v[vgprValuC+174], acc121 // copy acc to vreg[94]
v_accvgpr_read_b32 v[vgprValuC+175], acc125 // copy acc to vreg[95]
v_accvgpr_read_b32 v[vgprValuC+180], acc66 // copy acc to vreg[96]
v_accvgpr_read_b32 v[vgprValuC+181], acc70 // copy acc to vreg[97]
v_accvgpr_read_b32 v[vgprValuC+182], acc74 // copy acc to vreg[98]
v_accvgpr_read_b32 v[vgprValuC+183], acc78 // copy acc to vreg[99]
v_accvgpr_read_b32 v[vgprValuC+184], acc82 // copy acc to vreg[100]
v_accvgpr_read_b32 v[vgprValuC+185], acc86 // copy acc to vreg[101]
v_accvgpr_read_b32 v[vgprValuC+186], acc90 // copy acc to vreg[102]
v_accvgpr_read_b32 v[vgprValuC+187], acc94 // copy acc to vreg[103]
v_accvgpr_read_b32 v[vgprValuC+196], acc98 // copy acc to vreg[104]
v_accvgpr_read_b32 v[vgprValuC+197], acc102 // copy acc to vreg[105]
v_accvgpr_read_b32 v[vgprValuC+198], acc106 // copy acc to vreg[106]
v_accvgpr_read_b32 v[vgprValuC+199], acc110 // copy acc to vreg[107]
v_accvgpr_read_b32 v[vgprValuC+200], acc114 // copy acc to vreg[108]
v_accvgpr_read_b32 v[vgprValuC+201], acc118 // copy acc to vreg[109]
v_accvgpr_read_b32 v[vgprValuC+202], acc122 // copy acc to vreg[110]
v_accvgpr_read_b32 v[vgprValuC+203], acc126 // copy acc to vreg[111]
v_accvgpr_read_b32 v[vgprValuC+208], acc67 // copy acc to vreg[112]
v_accvgpr_read_b32 v[vgprValuC+209], acc71 // copy acc to vreg[113]
v_accvgpr_read_b32 v[vgprValuC+210], acc75 // copy acc to vreg[114]
v_accvgpr_read_b32 v[vgprValuC+211], acc79 // copy acc to vreg[115]
v_accvgpr_read_b32 v[vgprValuC+216], acc83 // copy acc to vreg[116]
v_accvgpr_read_b32 v[vgprValuC+217], acc87 // copy acc to vreg[117]
v_accvgpr_read_b32 v[vgprValuC+218], acc91 // copy acc to vreg[118]
v_accvgpr_read_b32 v[vgprValuC+219], acc95 // copy acc to vreg[119]
v_accvgpr_read_b32 v[vgprValuC+224], acc99 // copy acc to vreg[120]
v_accvgpr_read_b32 v[vgprValuC+225], acc103 // copy acc to vreg[121]
v_accvgpr_read_b32 v[vgprValuC+226], acc107 // copy acc to vreg[122]
v_accvgpr_read_b32 v[vgprValuC+227], acc111 // copy acc to vreg[123]
v_accvgpr_read_b32 v[vgprValuC+228], acc115 // copy acc to vreg[124]
v_accvgpr_read_b32 v[vgprValuC+229], acc119 // copy acc to vreg[125]
v_accvgpr_read_b32 v[vgprValuC+230], acc123 // copy acc to vreg[126]
v_accvgpr_read_b32 v[vgprValuC+231], acc127 // copy acc to vreg[127]
s_nop 1                                            // 2 wait states required before reading vgpr

/* rC *= alpha batchElements=[(0, 0, 0, 0), (0, 0, 1, 0), (0, 0, 2, 0), (0, 0, 3, 0), (0, 0, 4, 0), (0, 0, 5, 0), (0, 0, 6, 0), (0, 0, 7, 0), (0, 0, 8, 0), (0, 0, 9, 0), (0, 0, 10, 0), (0, 0, 11, 0), (0, 0, 12, 0), (0, 0, 13, 0), (0, 0, 14, 0), (0, 0, 15, 0), (1, 0, 0, 0), (1, 0, 1, 0), (1, 0, 2, 0), (1, 0, 3, 0), (1, 0, 4, 0), (1, 0, 5, 0), (1, 0, 6, 0), (1, 0, 7, 0), (1, 0, 8, 0), (1, 0, 9, 0), (1, 0, 10, 0), (1, 0, 11, 0), (1, 0, 12, 0), (1, 0, 13, 0), (1, 0, 14, 0), (1, 0, 15, 0)] */
v_mul_f32 v[vgprValuC+12], s[sgprAlpha], v[vgprValuC+12] // *= alpha
v_mul_f32 v[vgprValuC+13], s[sgprAlpha], v[vgprValuC+13] // *= alpha
	;; [unrolled: 1-line block ×128, first 2 shown]
s_waitcnt vmcnt(0)                                 // wait C

/* apply mask, calc new C and issue writes */
v_fma_mix_f32 v[vgprValuC+12], s[sgprBeta], v8, v[vgprValuC+12], op_sel:[0,0,0] op_sel_hi:[0,1,0] // //C*=beta
v_fma_mix_f32 v[vgprValuC+13], s[sgprBeta], v8, v[vgprValuC+13], op_sel:[0,1,0] op_sel_hi:[0,1,0] // //C*=beta
v_fma_mix_f32 v[vgprValuC+14], s[sgprBeta], v9, v[vgprValuC+14], op_sel:[0,0,0] op_sel_hi:[0,1,0] // //C*=beta
v_fma_mix_f32 v[vgprValuC+15], s[sgprBeta], v9, v[vgprValuC+15], op_sel:[0,1,0] op_sel_hi:[0,1,0] // //C*=beta
v_cvt_f16_f32 v[vgprValuC+12], v[vgprValuC+12]     // convert C to fp16
v_cvt_f16_f32 v[vgprValuC+13], v[vgprValuC+13]     // convert C to fp16
v_pack_b32_f16 v12, v[vgprValuC+12], v[vgprValuC+13] // Pack with neighbor
v_cvt_f16_f32 v[vgprValuC+14], v[vgprValuC+14]     // convert C to fp16
v_cvt_f16_f32 v[vgprValuC+15], v[vgprValuC+15]     // convert C to fp16
v_pack_b32_f16 v13, v[vgprValuC+14], v[vgprValuC+15] // Pack with neighbor
_buffer_store_b64 v[12:13], v6, s[sgprSrdD:sgprSrdD+3], 0, offen, offset:0,  sc0 // store D
v_fma_mix_f32 v[vgprValuC+16], s[sgprBeta], v10, v[vgprValuC+16], op_sel:[0,0,0] op_sel_hi:[0,1,0] // //C*=beta
v_fma_mix_f32 v[vgprValuC+17], s[sgprBeta], v10, v[vgprValuC+17], op_sel:[0,1,0] op_sel_hi:[0,1,0] // //C*=beta
v_fma_mix_f32 v[vgprValuC+18], s[sgprBeta], v11, v[vgprValuC+18], op_sel:[0,0,0] op_sel_hi:[0,1,0] // //C*=beta
v_fma_mix_f32 v[vgprValuC+19], s[sgprBeta], v11, v[vgprValuC+19], op_sel:[0,1,0] op_sel_hi:[0,1,0] // //C*=beta
v_cvt_f16_f32 v[vgprValuC+16], v[vgprValuC+16]     // convert C to fp16
v_cvt_f16_f32 v[vgprValuC+17], v[vgprValuC+17]     // convert C to fp16
v_pack_b32_f16 v16, v[vgprValuC+16], v[vgprValuC+17] // Pack with neighbor
v_cvt_f16_f32 v[vgprValuC+18], v[vgprValuC+18]     // convert C to fp16
v_cvt_f16_f32 v[vgprValuC+19], v[vgprValuC+19]     // convert C to fp16
v_pack_b32_f16 v17, v[vgprValuC+18], v[vgprValuC+19] // Pack with neighbor
_buffer_store_b64 v[16:17], v7, s[sgprSrdD:sgprSrdD+3], 0, offen, offset:0,  sc0 // store D
	;; [unrolled: 11-line block ×13, first 2 shown]
v_fma_mix_f32 v[vgprValuC+100], s[sgprBeta], v94, v[vgprValuC+100], op_sel:[0,0,0] op_sel_hi:[0,1,0] // //C*=beta
v_fma_mix_f32 v[vgprValuC+101], s[sgprBeta], v94, v[vgprValuC+101], op_sel:[0,1,0] op_sel_hi:[0,1,0] // //C*=beta
v_fma_mix_f32 v[vgprValuC+102], s[sgprBeta], v95, v[vgprValuC+102], op_sel:[0,0,0] op_sel_hi:[0,1,0] // //C*=beta
v_fma_mix_f32 v[vgprValuC+103], s[sgprBeta], v95, v[vgprValuC+103], op_sel:[0,1,0] op_sel_hi:[0,1,0] // //C*=beta
v_cvt_f16_f32 v[vgprValuC+100], v[vgprValuC+100]   // convert C to fp16
v_cvt_f16_f32 v[vgprValuC+101], v[vgprValuC+101]   // convert C to fp16
v_pack_b32_f16 v100, v[vgprValuC+100], v[vgprValuC+101] // Pack with neighbor
v_cvt_f16_f32 v[vgprValuC+102], v[vgprValuC+102]   // convert C to fp16
v_cvt_f16_f32 v[vgprValuC+103], v[vgprValuC+103]   // convert C to fp16
v_pack_b32_f16 v101, v[vgprValuC+102], v[vgprValuC+103] // Pack with neighbor
_buffer_store_b64 v[100:101], v87, s[sgprSrdD:sgprSrdD+3], 0, offen, offset:0,  sc0 // store D
v_fma_mix_f32 v[vgprValuC+108], s[sgprBeta], v106, v[vgprValuC+108], op_sel:[0,0,0] op_sel_hi:[0,1,0] // //C*=beta
v_fma_mix_f32 v[vgprValuC+109], s[sgprBeta], v106, v[vgprValuC+109], op_sel:[0,1,0] op_sel_hi:[0,1,0] // //C*=beta
v_fma_mix_f32 v[vgprValuC+110], s[sgprBeta], v107, v[vgprValuC+110], op_sel:[0,0,0] op_sel_hi:[0,1,0] // //C*=beta
v_fma_mix_f32 v[vgprValuC+111], s[sgprBeta], v107, v[vgprValuC+111], op_sel:[0,1,0] op_sel_hi:[0,1,0] // //C*=beta
v_cvt_f16_f32 v[vgprValuC+108], v[vgprValuC+108]   // convert C to fp16
v_cvt_f16_f32 v[vgprValuC+109], v[vgprValuC+109]   // convert C to fp16
v_pack_b32_f16 v108, v[vgprValuC+108], v[vgprValuC+109] // Pack with neighbor
v_cvt_f16_f32 v[vgprValuC+110], v[vgprValuC+110]   // convert C to fp16
v_cvt_f16_f32 v[vgprValuC+111], v[vgprValuC+111]   // convert C to fp16
v_pack_b32_f16 v109, v[vgprValuC+110], v[vgprValuC+111] // Pack with neighbor
_buffer_store_b64 v[108:109], v104, s[sgprSrdD:sgprSrdD+3], 0, offen, offset:0,  sc0 // store D
	;; [unrolled: 11-line block ×19, first 2 shown]
s_nop 0                                            // 1 wait state required when next inst writes vgprs held by previous dwordx4 store inst
s_branch label_GW_End_44                           // jump to end
label_GW_End_44:

label_0049:  /// KernelEnd
s_endpgm                                           // Kernel End

